;; amdgpu-corpus repo=triton-lang/triton kind=triton arch=gfx1201 opt=O3 lang=triton
	.amdgcn_target "amdgcn-amd-amdhsa--gfx1201"
	.amdhsa_code_object_version 5
	.text
	.globl	matmul_kernel                   ; -- Begin function matmul_kernel
	.p2align	8
	.type	matmul_kernel,@function
matmul_kernel:                          ; @matmul_kernel
.Lfunc_begin0:
	.file	1 "/root/src/amdgpu-assembly/repos/triton-lang__triton-aot" "matmul.py"
	.loc	1 7 0                           ; matmul.py:7:0
	.cfi_sections .debug_frame
	.cfi_startproc
; %bb.0:
	s_load_b128 s[4:7], s[0:1], 0x18
.Ltmp0:
	.loc	1 16 22 prologue_end            ; matmul.py:16:22
	s_abs_i32 s9, ttmp9
	.loc	1 41 21                         ; matmul.py:41:21
	s_bfe_u32 s17, ttmp8, 0x50019
	scratch_store_b32 off, v0, off          ; 4-byte Folded Spill
	.loc	1 25 60                         ; matmul.py:25:60
	v_and_b32_e32 v255, 15, v0
	v_mov_b32_e32 v9, 0
.Ltmp1:
	.file	2 "/root/.local/lib/python3.13/site-packages/triton/language" "standard.py"
	.loc	2 43 17                         ; standard.py:43:17 @[ matmul.py:14:27 ]
	s_wait_kmcnt 0x0
	s_add_co_i32 s2, s5, 63
.Ltmp2:
	.loc	2 43 17 is_stmt 0               ; standard.py:43:17 @[ matmul.py:13:27 ]
	s_add_co_i32 s10, s4, 63
.Ltmp3:
	.loc	2 43 30                         ; standard.py:43:30 @[ matmul.py:14:27 ]
	s_ashr_i32 s3, s2, 31
.Ltmp4:
	.loc	2 43 30                         ; standard.py:43:30 @[ matmul.py:13:27 ]
	s_ashr_i32 s12, s10, 31
.Ltmp5:
	.loc	2 43 30                         ; standard.py:43:30 @[ matmul.py:14:27 ]
	s_lshr_b32 s3, s3, 26
.Ltmp6:
	.loc	2 43 30                         ; standard.py:43:30 @[ matmul.py:13:27 ]
	s_lshr_b32 s12, s12, 26
.Ltmp7:
	.loc	2 43 30                         ; standard.py:43:30 @[ matmul.py:14:27 ]
	s_add_co_i32 s2, s2, s3
.Ltmp8:
	.loc	2 43 30                         ; standard.py:43:30 @[ matmul.py:13:27 ]
	s_add_co_i32 s10, s10, s12
.Ltmp9:
	.loc	2 43 30                         ; standard.py:43:30 @[ matmul.py:14:27 ]
	s_ashr_i32 s2, s2, 6
.Ltmp10:
	.loc	2 43 30                         ; standard.py:43:30 @[ matmul.py:13:27 ]
	s_ashr_i32 s10, s10, 6
.Ltmp11:
	.loc	1 15 38 is_stmt 1               ; matmul.py:15:38
	s_lshl_b32 s2, s2, 3
	s_delay_alu instid0(SALU_CYCLE_1) | instskip(NEXT) | instid1(SALU_CYCLE_1)
	.loc	1 16 22                         ; matmul.py:16:22
	s_abs_i32 s3, s2
	s_cvt_f32_u32 s8, s3
	s_sub_co_i32 s11, 0, s3
	s_delay_alu instid0(SALU_CYCLE_2) | instskip(NEXT) | instid1(TRANS32_DEP_1)
	v_rcp_iflag_f32_e32 v1, s8
	v_readfirstlane_b32 s8, v1
	s_mul_f32 s8, s8, 0x4f7ffffe
	s_wait_alu depctr_sa_sdst(0)
	s_delay_alu instid0(SALU_CYCLE_2) | instskip(SKIP_1) | instid1(SALU_CYCLE_2)
	s_cvt_u32_f32 s8, s8
	s_wait_alu depctr_sa_sdst(0)
	s_mul_i32 s11, s11, s8
	s_delay_alu instid0(SALU_CYCLE_1) | instskip(NEXT) | instid1(SALU_CYCLE_1)
	s_mul_hi_u32 s11, s8, s11
	s_add_co_i32 s8, s8, s11
	s_xor_b32 s11, ttmp9, s2
	s_wait_alu depctr_sa_sdst(0)
	s_mul_hi_u32 s8, s9, s8
	s_ashr_i32 s11, s11, 31
	s_wait_alu depctr_sa_sdst(0)
	s_mul_i32 s12, s8, s3
	s_delay_alu instid0(SALU_CYCLE_1)
	s_sub_co_i32 s9, s9, s12
	s_add_co_i32 s12, s8, 1
	s_wait_alu depctr_sa_sdst(0)
	s_sub_co_i32 s13, s9, s3
	s_cmp_ge_u32 s9, s3
	s_cselect_b32 s8, s12, s8
	s_cselect_b32 s9, s13, s9
	s_wait_alu depctr_sa_sdst(0)
	s_add_co_i32 s12, s8, 1
	s_cmp_ge_u32 s9, s3
	s_cselect_b32 s3, s12, s8
	s_delay_alu instid0(SALU_CYCLE_1) | instskip(NEXT) | instid1(SALU_CYCLE_1)
	s_xor_b32 s3, s3, s11
	s_sub_co_i32 s3, s3, s11
	s_delay_alu instid0(SALU_CYCLE_1)
	.loc	1 17 29                         ; matmul.py:17:29
	s_lshl_b32 s8, s3, 3
	.loc	1 19 34                         ; matmul.py:19:34
	s_mul_i32 s3, s3, s2
	.loc	1 18 35                         ; matmul.py:18:35
	s_wait_alu depctr_sa_sdst(0)
	s_sub_co_i32 s9, s10, s8
	.loc	1 19 34                         ; matmul.py:19:34
	s_sub_co_i32 s2, ttmp9, s3
	.loc	1 18 48                         ; matmul.py:18:48
	s_wait_alu depctr_sa_sdst(0)
	s_min_i32 s9, s9, 8
	.loc	1 20 40                         ; matmul.py:20:40
	s_wait_alu depctr_sa_sdst(0)
	s_abs_i32 s10, s9
	s_delay_alu instid0(SALU_CYCLE_1) | instskip(SKIP_1) | instid1(SALU_CYCLE_2)
	s_cvt_f32_u32 s11, s10
	s_sub_co_i32 s12, 0, s10
	v_rcp_iflag_f32_e32 v1, s11
	s_delay_alu instid0(TRANS32_DEP_1) | instskip(SKIP_2) | instid1(SALU_CYCLE_2)
	v_readfirstlane_b32 s11, v1
	s_mul_f32 s11, s11, 0x4f7ffffe
	s_wait_alu depctr_sa_sdst(0)
	s_cvt_u32_f32 s11, s11
	s_wait_alu depctr_sa_sdst(0)
	s_delay_alu instid0(SALU_CYCLE_2) | instskip(NEXT) | instid1(SALU_CYCLE_1)
	s_mul_i32 s12, s12, s11
	s_mul_hi_u32 s3, s11, s12
	s_abs_i32 s12, s2
	s_add_co_i32 s11, s11, s3
	s_wait_alu depctr_sa_sdst(0)
	s_mul_hi_u32 s3, s12, s11
	s_xor_b32 s11, s2, s9
	s_mul_i32 s13, s3, s10
	s_wait_alu depctr_sa_sdst(0)
	s_ashr_i32 s11, s11, 31
	s_sub_co_i32 s12, s12, s13
	s_add_co_i32 s13, s3, 1
	s_sub_co_i32 s14, s12, s10
	s_cmp_ge_u32 s12, s10
	s_cselect_b32 s3, s13, s3
	s_cselect_b32 s12, s14, s12
	s_add_co_i32 s13, s3, 1
	s_cmp_ge_u32 s12, s10
	s_cselect_b32 s3, s13, s3
	.loc	1 22 68                         ; matmul.py:22:68
	s_abs_i32 s12, s4
	.loc	1 22 51 is_stmt 0               ; matmul.py:22:51
	s_lshl_b32 s13, s17, 5
	.loc	1 22 68                         ; matmul.py:22:68
	s_cvt_f32_u32 s10, s12
	.loc	1 20 40 is_stmt 1               ; matmul.py:20:40
	s_wait_alu depctr_sa_sdst(0)
	s_xor_b32 s3, s3, s11
	.loc	1 22 51                         ; matmul.py:22:51
	v_and_or_b32 v17, v0, 31, s13
	.loc	1 20 40                         ; matmul.py:20:40
	s_sub_co_i32 s11, s3, s11
	.loc	1 22 68                         ; matmul.py:22:68
	v_rcp_iflag_f32_e32 v2, s10
	.loc	1 19 54                         ; matmul.py:19:54
	s_wait_alu depctr_sa_sdst(0)
	s_mul_i32 s3, s11, s9
	v_mov_b32_e32 v0, 0
	s_sub_co_i32 s2, s2, s3
	.loc	1 22 51                         ; matmul.py:22:51
	v_lshrrev_b32_e32 v1, 4, v17
	.loc	1 19 27                         ; matmul.py:19:27
	s_add_co_i32 s2, s2, s8
	.loc	1 23 68                         ; matmul.py:23:68
	s_abs_i32 s14, s5
	.loc	1 22 23                         ; matmul.py:22:23
	s_lshl_b32 s16, s2, 6
	.loc	1 22 68 is_stmt 0               ; matmul.py:22:68
	s_bfe_i32 s13, s2, 0x10019
	.loc	1 22 38                         ; matmul.py:22:38
	v_and_or_b32 v1, v1, 7, s16
	.loc	1 22 68                         ; matmul.py:22:68
	v_readfirstlane_b32 s3, v2
	s_sub_co_i32 s2, 0, s12
.Ltmp12:
	.loc	2 43 17 is_stmt 1               ; standard.py:43:17 @[ matmul.py:29:33 ]
	s_add_co_i32 s27, s6, 15
	s_load_b64 s[8:9], s[0:1], 0x0
.Ltmp13:
	.loc	1 22 68                         ; matmul.py:22:68
	v_add_nc_u32_e32 v7, s13, v1
	s_mul_f32 s3, s3, 0x4f7ffffe
	s_delay_alu instid0(SALU_CYCLE_3) | instskip(NEXT) | instid1(VALU_DEP_1)
	s_cvt_u32_f32 s10, s3
	v_xor_b32_e32 v2, s13, v7
	s_load_b32 s3, s[0:1], 0x28
	v_add_nc_u32_e32 v8, 32, v7
	s_mul_i32 s2, s2, s10
	v_add_nc_u32_e32 v11, 40, v7
	s_mul_hi_u32 s2, s10, s2
	v_add_nc_u32_e32 v4, 24, v7
	s_add_co_i32 s10, s10, s2
	.loc	1 23 68                         ; matmul.py:23:68
	s_cvt_f32_u32 s2, s14
	.loc	1 22 68                         ; matmul.py:22:68
	s_wait_alu depctr_sa_sdst(0)
	v_mul_hi_u32 v1, v2, s10
	.loc	1 29 22                         ; matmul.py:29:22
	s_cmp_gt_i32 s27, 15
	.loc	1 22 68                         ; matmul.py:22:68
	v_xor_b32_e32 v8, s13, v8
	.loc	1 29 22                         ; matmul.py:29:22
	s_cselect_b32 s26, -1, 0
	.loc	1 22 68                         ; matmul.py:22:68
	v_xor_b32_e32 v13, s13, v4
	s_delay_alu instid0(VALU_DEP_3) | instskip(NEXT) | instid1(VALU_DEP_1)
	v_mul_lo_u32 v1, v1, s12
	v_sub_nc_u32_e32 v2, v2, v1
	s_delay_alu instid0(VALU_DEP_1) | instskip(SKIP_1) | instid1(VALU_DEP_2)
	v_subrev_nc_u32_e32 v1, s12, v2
	v_cmp_le_u32_e32 vcc_lo, s12, v2
	v_cndmask_b32_e32 v3, v2, v1, vcc_lo
	.loc	1 23 68                         ; matmul.py:23:68
	v_rcp_iflag_f32_e32 v2, s2
	s_delay_alu instid0(VALU_DEP_1) | instskip(SKIP_2) | instid1(VALU_DEP_2)
	.loc	1 22 68                         ; matmul.py:22:68
	v_subrev_nc_u32_e32 v1, s12, v3
	v_cmp_le_u32_e32 vcc_lo, s12, v3
	s_wait_alu depctr_va_vcc(0)
	v_cndmask_b32_e32 v1, v3, v1, vcc_lo
	s_delay_alu instid0(TRANS32_DEP_1) | instskip(SKIP_1) | instid1(VALU_DEP_3)
	.loc	1 23 68                         ; matmul.py:23:68
	v_readfirstlane_b32 s2, v2
	.loc	1 30 51                         ; matmul.py:30:51
	v_cmp_gt_i32_e32 vcc_lo, s6, v255
	.loc	1 22 68                         ; matmul.py:22:68
	v_xor_b32_e32 v3, s13, v1
	.loc	1 25 71                         ; matmul.py:25:71
	s_wait_kmcnt 0x0
	v_mul_lo_u32 v1, s3, v255
	.loc	1 23 68                         ; matmul.py:23:68
	s_mul_f32 s15, s2, 0x4f7ffffe
	s_delay_alu instid0(VALU_DEP_2) | instskip(SKIP_1) | instid1(VALU_DEP_2)
	.loc	1 22 68                         ; matmul.py:22:68
	v_subrev_nc_u32_e32 v2, s13, v3
	v_add_nc_u32_e32 v3, 8, v7
	.loc	1 25 53                         ; matmul.py:25:53
	v_mad_co_u64_u32 v[5:6], null, v2, s7, v[1:2]
	.loc	1 22 68                         ; matmul.py:22:68
	v_add_nc_u32_e32 v2, 16, v7
	s_delay_alu instid0(VALU_DEP_3) | instskip(NEXT) | instid1(VALU_DEP_2)
	v_xor_b32_e32 v12, s13, v3
	v_xor_b32_e32 v10, s13, v2
	s_delay_alu instid0(VALU_DEP_4) | instskip(NEXT) | instid1(VALU_DEP_3)
	.loc	1 25 22                         ; matmul.py:25:22
	v_ashrrev_i32_e32 v6, 31, v5
	.loc	1 22 68                         ; matmul.py:22:68
	v_mad_co_u64_u32 v[3:4], null, v12, s10, 0
	v_mad_co_u64_u32 v[2:3], null, v13, s10, 0
	s_delay_alu instid0(VALU_DEP_3) | instskip(SKIP_1) | instid1(VALU_DEP_2)
	.loc	1 25 22                         ; matmul.py:25:22
	v_lshlrev_b64_e32 v[177:178], 2, v[5:6]
	.loc	1 22 68                         ; matmul.py:22:68
	v_mad_co_u64_u32 v[5:6], null, v10, s10, 0
	.loc	1 25 22                         ; matmul.py:25:22
	v_add_co_u32 v33, s2, s8, v177
	s_wait_alu depctr_va_sdst(0)
	s_delay_alu instid0(VALU_DEP_3)
	v_add_co_ci_u32_e64 v34, null, s9, v178, s2
	.loc	1 29 22                         ; matmul.py:29:22
	s_and_b32 s2, vcc_lo, s26
	.loc	1 30 20                         ; matmul.py:30:20
	s_wait_alu depctr_sa_sdst(0)
	s_and_saveexec_b32 s18, s2
	s_cbranch_execz .LBB0_2
; %bb.1:
	global_load_b32 v9, v[33:34], off
.LBB0_2:
	.loc	1 0 20 is_stmt 0                ; matmul.py:0:20
	s_or_b32 exec_lo, exec_lo, s18
	.loc	1 22 68 is_stmt 1               ; matmul.py:22:68
	v_mul_lo_u32 v2, v4, s12
	.loc	1 0 0 is_stmt 0                 ; matmul.py:0
	v_add_nc_u32_e32 v14, 48, v7
	s_cvt_u32_f32 s18, s15
	s_lshl_b32 s15, s11, 6
	s_sub_co_i32 s19, 0, s14
	s_delay_alu instid0(VALU_DEP_2) | instskip(SKIP_1) | instid1(VALU_DEP_2)
	.loc	1 22 68                         ; matmul.py:22:68
	v_sub_nc_u32_e32 v2, v12, v2
	.loc	1 0 0                           ; matmul.py:0
	v_xor_b32_e32 v12, s13, v11
	.loc	1 22 68                         ; matmul.py:22:68
	v_subrev_nc_u32_e32 v4, s12, v2
	v_cmp_le_u32_e32 vcc_lo, s12, v2
	s_wait_alu depctr_va_vcc(0)
	s_delay_alu instid0(VALU_DEP_2) | instskip(NEXT) | instid1(VALU_DEP_1)
	v_cndmask_b32_e32 v2, v2, v4, vcc_lo
	v_subrev_nc_u32_e32 v4, s12, v2
	v_cmp_le_u32_e32 vcc_lo, s12, v2
	s_wait_alu depctr_va_vcc(0)
	s_delay_alu instid0(VALU_DEP_2) | instskip(NEXT) | instid1(VALU_DEP_1)
	v_cndmask_b32_e32 v2, v2, v4, vcc_lo
	v_xor_b32_e32 v2, s13, v2
	s_delay_alu instid0(VALU_DEP_1) | instskip(NEXT) | instid1(VALU_DEP_1)
	v_subrev_nc_u32_e32 v2, s13, v2
	.loc	1 25 53 is_stmt 1               ; matmul.py:25:53
	v_mad_co_u64_u32 v[4:5], null, v2, s7, v[1:2]
	s_delay_alu instid0(VALU_DEP_1) | instskip(NEXT) | instid1(VALU_DEP_1)
	.loc	1 25 22 is_stmt 0               ; matmul.py:25:22
	v_ashrrev_i32_e32 v5, 31, v4
	v_lshlrev_b64_e32 v[179:180], 2, v[4:5]
	.loc	1 0 0                           ; matmul.py:0
	v_mad_co_u64_u32 v[4:5], null, v8, s10, 0
	s_delay_alu instid0(VALU_DEP_2) | instskip(SKIP_1) | instid1(VALU_DEP_3)
	.loc	1 25 22                         ; matmul.py:25:22
	v_add_co_u32 v35, vcc_lo, s8, v179
	s_wait_alu depctr_va_vcc(0)
	v_add_co_ci_u32_e64 v36, null, s9, v180, vcc_lo
	.loc	1 30 20 is_stmt 1               ; matmul.py:30:20
	s_and_saveexec_b32 s20, s2
	s_cbranch_execz .LBB0_4
; %bb.3:
	global_load_b32 v0, v[35:36], off
.LBB0_4:
	.loc	1 0 20 is_stmt 0                ; matmul.py:0:20
	s_or_b32 exec_lo, exec_lo, s20
	.loc	1 22 68 is_stmt 1               ; matmul.py:22:68
	v_mul_lo_u32 v2, v6, s12
	.loc	1 0 0 is_stmt 0                 ; matmul.py:0
	v_and_or_b32 v16, v17, 63, s15
	v_xor_b32_e32 v15, s13, v14
	s_bfe_i32 s15, s11, 0x10019
	s_mul_i32 s19, s19, s18
	s_delay_alu instid0(VALU_DEP_3) | instskip(NEXT) | instid1(VALU_DEP_1)
	.loc	1 22 68                         ; matmul.py:22:68
	v_sub_nc_u32_e32 v2, v10, v2
	v_subrev_nc_u32_e32 v4, s12, v2
	v_cmp_le_u32_e32 vcc_lo, s12, v2
	s_wait_alu depctr_va_vcc(0)
	s_delay_alu instid0(VALU_DEP_2) | instskip(NEXT) | instid1(VALU_DEP_1)
	v_cndmask_b32_e32 v2, v2, v4, vcc_lo
	v_subrev_nc_u32_e32 v4, s12, v2
	v_cmp_le_u32_e32 vcc_lo, s12, v2
	s_wait_alu depctr_va_vcc(0)
	s_delay_alu instid0(VALU_DEP_2) | instskip(NEXT) | instid1(VALU_DEP_1)
	v_cndmask_b32_e32 v2, v2, v4, vcc_lo
	v_xor_b32_e32 v2, s13, v2
	s_delay_alu instid0(VALU_DEP_1) | instskip(NEXT) | instid1(VALU_DEP_1)
	v_subrev_nc_u32_e32 v2, s13, v2
	.loc	1 25 53 is_stmt 1               ; matmul.py:25:53
	v_mad_co_u64_u32 v[10:11], null, v2, s7, v[1:2]
	.loc	1 0 0 is_stmt 0                 ; matmul.py:0
	v_add_nc_u32_e32 v2, 56, v7
	v_mad_co_u64_u32 v[6:7], null, v12, s10, 0
	s_delay_alu instid0(VALU_DEP_3) | instskip(NEXT) | instid1(VALU_DEP_1)
	.loc	1 25 22                         ; matmul.py:25:22
	v_ashrrev_i32_e32 v11, 31, v10
	v_lshlrev_b64_e32 v[225:226], 2, v[10:11]
	v_dual_mov_b32 v10, 0 :: v_dual_mov_b32 v11, 0
	s_delay_alu instid0(VALU_DEP_2) | instskip(SKIP_1) | instid1(VALU_DEP_3)
	v_add_co_u32 v37, vcc_lo, s8, v225
	s_wait_alu depctr_va_vcc(0)
	v_add_co_ci_u32_e64 v38, null, s9, v226, vcc_lo
	.loc	1 30 20 is_stmt 1               ; matmul.py:30:20
	s_and_saveexec_b32 s11, s2
	s_cbranch_execz .LBB0_6
; %bb.5:
	global_load_b32 v11, v[37:38], off
.LBB0_6:
	.loc	1 0 20 is_stmt 0                ; matmul.py:0:20
	s_wait_alu depctr_sa_sdst(0)
	s_or_b32 exec_lo, exec_lo, s11
	.loc	1 22 68 is_stmt 1               ; matmul.py:22:68
	v_mul_lo_u32 v3, v3, s12
	scratch_store_b32 off, v16, off offset:8 ; 4-byte Folded Spill
	.loc	1 0 0 is_stmt 0                 ; matmul.py:0
	s_mul_hi_u32 s11, s18, s19
	.loc	1 22 68                         ; matmul.py:22:68
	v_sub_nc_u32_e32 v3, v13, v3
	s_delay_alu instid0(VALU_DEP_1) | instskip(SKIP_2) | instid1(VALU_DEP_2)
	v_subrev_nc_u32_e32 v4, s12, v3
	v_cmp_le_u32_e32 vcc_lo, s12, v3
	s_wait_alu depctr_va_vcc(0)
	v_cndmask_b32_e32 v3, v3, v4, vcc_lo
	s_delay_alu instid0(VALU_DEP_1) | instskip(SKIP_2) | instid1(VALU_DEP_2)
	v_subrev_nc_u32_e32 v4, s12, v3
	v_cmp_le_u32_e32 vcc_lo, s12, v3
	s_wait_alu depctr_va_vcc(0)
	v_cndmask_b32_e32 v3, v3, v4, vcc_lo
	s_delay_alu instid0(VALU_DEP_1) | instskip(NEXT) | instid1(VALU_DEP_1)
	v_xor_b32_e32 v3, s13, v3
	v_subrev_nc_u32_e32 v3, s13, v3
	s_delay_alu instid0(VALU_DEP_1) | instskip(NEXT) | instid1(VALU_DEP_1)
	.loc	1 25 53 is_stmt 1               ; matmul.py:25:53
	v_mad_co_u64_u32 v[3:4], null, v3, s7, v[1:2]
	.loc	1 25 22 is_stmt 0               ; matmul.py:25:22
	v_ashrrev_i32_e32 v4, 31, v3
	s_delay_alu instid0(VALU_DEP_1) | instskip(SKIP_3) | instid1(VALU_DEP_4)
	v_lshlrev_b64_e32 v[227:228], 2, v[3:4]
	.loc	1 0 0                           ; matmul.py:0
	v_add_nc_u32_e32 v4, s15, v16
	v_xor_b32_e32 v16, s13, v2
	v_mad_co_u64_u32 v[2:3], null, v15, s10, 0
	.loc	1 25 22                         ; matmul.py:25:22
	v_add_co_u32 v39, vcc_lo, s8, v227
	s_wait_alu depctr_va_vcc(0)
	v_add_co_ci_u32_e64 v40, null, s9, v228, vcc_lo
	.loc	1 30 20 is_stmt 1               ; matmul.py:30:20
	s_and_saveexec_b32 s19, s2
	s_cbranch_execz .LBB0_8
; %bb.7:
	global_load_b32 v10, v[39:40], off
.LBB0_8:
	.loc	1 0 20 is_stmt 0                ; matmul.py:0:20
	s_or_b32 exec_lo, exec_lo, s19
	.loc	1 22 68 is_stmt 1               ; matmul.py:22:68
	v_mul_lo_u32 v2, v5, s12
	v_mov_b32_e32 v14, 0
	.loc	1 0 0 is_stmt 0                 ; matmul.py:0
	s_wait_alu depctr_sa_sdst(0)
	s_add_co_i32 s18, s18, s11
	v_mov_b32_e32 v13, 0
	s_delay_alu instid0(VALU_DEP_3) | instskip(NEXT) | instid1(VALU_DEP_1)
	.loc	1 22 68                         ; matmul.py:22:68
	v_sub_nc_u32_e32 v2, v8, v2
	v_subrev_nc_u32_e32 v5, s12, v2
	v_cmp_le_u32_e32 vcc_lo, s12, v2
	s_wait_alu depctr_va_vcc(0)
	s_delay_alu instid0(VALU_DEP_2) | instskip(NEXT) | instid1(VALU_DEP_1)
	v_cndmask_b32_e32 v2, v2, v5, vcc_lo
	v_subrev_nc_u32_e32 v5, s12, v2
	v_cmp_le_u32_e32 vcc_lo, s12, v2
	s_wait_alu depctr_va_vcc(0)
	s_delay_alu instid0(VALU_DEP_2) | instskip(NEXT) | instid1(VALU_DEP_1)
	v_cndmask_b32_e32 v2, v2, v5, vcc_lo
	v_xor_b32_e32 v2, s13, v2
	s_delay_alu instid0(VALU_DEP_1) | instskip(NEXT) | instid1(VALU_DEP_1)
	v_subrev_nc_u32_e32 v2, s13, v2
	.loc	1 25 53 is_stmt 1               ; matmul.py:25:53
	v_mad_co_u64_u32 v[5:6], null, v2, s7, v[1:2]
	.loc	1 0 0 is_stmt 0                 ; matmul.py:0
	v_xor_b32_e32 v2, s15, v4
	s_delay_alu instid0(VALU_DEP_2) | instskip(NEXT) | instid1(VALU_DEP_1)
	.loc	1 25 22                         ; matmul.py:25:22
	v_ashrrev_i32_e32 v6, 31, v5
	v_lshlrev_b64_e32 v[229:230], 2, v[5:6]
	.loc	1 0 0                           ; matmul.py:0
	v_mad_co_u64_u32 v[4:5], null, v16, s10, 0
	s_delay_alu instid0(VALU_DEP_2) | instskip(SKIP_1) | instid1(VALU_DEP_3)
	.loc	1 25 22                         ; matmul.py:25:22
	v_add_co_u32 v41, vcc_lo, s8, v229
	s_wait_alu depctr_va_vcc(0)
	v_add_co_ci_u32_e64 v42, null, s9, v230, vcc_lo
	.loc	1 30 20 is_stmt 1               ; matmul.py:30:20
	s_and_saveexec_b32 s10, s2
	s_cbranch_execz .LBB0_10
; %bb.9:
	global_load_b32 v14, v[41:42], off
.LBB0_10:
	.loc	1 0 20 is_stmt 0                ; matmul.py:0:20
	s_wait_alu depctr_sa_sdst(0)
	s_or_b32 exec_lo, exec_lo, s10
	.loc	1 22 68 is_stmt 1               ; matmul.py:22:68
	v_mul_lo_u32 v4, v7, s12
	s_delay_alu instid0(VALU_DEP_1) | instskip(NEXT) | instid1(VALU_DEP_1)
	v_sub_nc_u32_e32 v4, v12, v4
	v_subrev_nc_u32_e32 v6, s12, v4
	v_cmp_le_u32_e32 vcc_lo, s12, v4
	s_wait_alu depctr_va_vcc(0)
	s_delay_alu instid0(VALU_DEP_2) | instskip(NEXT) | instid1(VALU_DEP_1)
	v_cndmask_b32_e32 v4, v4, v6, vcc_lo
	v_subrev_nc_u32_e32 v6, s12, v4
	v_cmp_le_u32_e32 vcc_lo, s12, v4
	s_wait_alu depctr_va_vcc(0)
	s_delay_alu instid0(VALU_DEP_2) | instskip(NEXT) | instid1(VALU_DEP_1)
	v_cndmask_b32_e32 v4, v4, v6, vcc_lo
	v_xor_b32_e32 v4, s13, v4
	s_delay_alu instid0(VALU_DEP_1) | instskip(NEXT) | instid1(VALU_DEP_1)
	v_subrev_nc_u32_e32 v4, s13, v4
	.loc	1 25 53                         ; matmul.py:25:53
	v_mad_co_u64_u32 v[6:7], null, v4, s7, v[1:2]
	s_delay_alu instid0(VALU_DEP_1) | instskip(NEXT) | instid1(VALU_DEP_1)
	.loc	1 25 22 is_stmt 0               ; matmul.py:25:22
	v_ashrrev_i32_e32 v7, 31, v6
	v_lshlrev_b64_e32 v[231:232], 2, v[6:7]
	.loc	1 0 0                           ; matmul.py:0
	v_mad_co_u64_u32 v[6:7], null, v2, s18, 0
	s_delay_alu instid0(VALU_DEP_2) | instskip(SKIP_1) | instid1(VALU_DEP_3)
	.loc	1 25 22                         ; matmul.py:25:22
	v_add_co_u32 v43, vcc_lo, s8, v231
	s_wait_alu depctr_va_vcc(0)
	v_add_co_ci_u32_e64 v44, null, s9, v232, vcc_lo
	.loc	1 30 20 is_stmt 1               ; matmul.py:30:20
	s_and_saveexec_b32 s10, s2
	s_cbranch_execz .LBB0_12
; %bb.11:
	global_load_b32 v13, v[43:44], off
.LBB0_12:
	.loc	1 0 20 is_stmt 0                ; matmul.py:0:20
	s_wait_alu depctr_sa_sdst(0)
	s_or_b32 exec_lo, exec_lo, s10
	.loc	1 22 68 is_stmt 1               ; matmul.py:22:68
	v_mul_lo_u32 v3, v3, s12
	s_load_b64 s[10:11], s[0:1], 0x8
	v_mov_b32_e32 v6, 0
	s_delay_alu instid0(VALU_DEP_2) | instskip(NEXT) | instid1(VALU_DEP_1)
	v_sub_nc_u32_e32 v3, v15, v3
	v_subrev_nc_u32_e32 v4, s12, v3
	v_cmp_le_u32_e32 vcc_lo, s12, v3
	s_wait_alu depctr_va_vcc(0)
	s_delay_alu instid0(VALU_DEP_2) | instskip(NEXT) | instid1(VALU_DEP_1)
	v_cndmask_b32_e32 v3, v3, v4, vcc_lo
	v_subrev_nc_u32_e32 v4, s12, v3
	v_cmp_le_u32_e32 vcc_lo, s12, v3
	s_wait_alu depctr_va_vcc(0)
	s_delay_alu instid0(VALU_DEP_2) | instskip(NEXT) | instid1(VALU_DEP_1)
	v_cndmask_b32_e32 v3, v3, v4, vcc_lo
	v_xor_b32_e32 v3, s13, v3
	s_delay_alu instid0(VALU_DEP_1) | instskip(NEXT) | instid1(VALU_DEP_1)
	v_subrev_nc_u32_e32 v3, s13, v3
	.loc	1 25 53                         ; matmul.py:25:53
	v_mad_co_u64_u32 v[3:4], null, v3, s7, v[1:2]
	s_delay_alu instid0(VALU_DEP_1) | instskip(NEXT) | instid1(VALU_DEP_1)
	.loc	1 25 22 is_stmt 0               ; matmul.py:25:22
	v_ashrrev_i32_e32 v4, 31, v3
	v_lshlrev_b64_e32 v[233:234], 2, v[3:4]
	v_mov_b32_e32 v3, 0
	s_delay_alu instid0(VALU_DEP_2) | instskip(SKIP_1) | instid1(VALU_DEP_3)
	v_add_co_u32 v45, vcc_lo, s8, v233
	s_wait_alu depctr_va_vcc(0)
	v_add_co_ci_u32_e64 v46, null, s9, v234, vcc_lo
	.loc	1 30 20 is_stmt 1               ; matmul.py:30:20
	s_and_saveexec_b32 s18, s2
	s_cbranch_execz .LBB0_14
; %bb.13:
	global_load_b32 v6, v[45:46], off
.LBB0_14:
	.loc	1 0 20 is_stmt 0                ; matmul.py:0:20
	s_wait_alu depctr_sa_sdst(0)
	s_or_b32 exec_lo, exec_lo, s18
	.loc	1 22 68 is_stmt 1               ; matmul.py:22:68
	v_mul_lo_u32 v4, v5, s12
	s_delay_alu instid0(VALU_DEP_1) | instskip(NEXT) | instid1(VALU_DEP_1)
	v_sub_nc_u32_e32 v4, v16, v4
	v_subrev_nc_u32_e32 v5, s12, v4
	v_cmp_le_u32_e32 vcc_lo, s12, v4
	s_wait_alu depctr_va_vcc(0)
	s_delay_alu instid0(VALU_DEP_2) | instskip(NEXT) | instid1(VALU_DEP_1)
	v_cndmask_b32_e32 v4, v4, v5, vcc_lo
	v_subrev_nc_u32_e32 v5, s12, v4
	v_cmp_le_u32_e32 vcc_lo, s12, v4
	s_wait_alu depctr_va_vcc(0)
	s_delay_alu instid0(VALU_DEP_2) | instskip(NEXT) | instid1(VALU_DEP_1)
	v_cndmask_b32_e32 v4, v4, v5, vcc_lo
	v_xor_b32_e32 v4, s13, v4
	s_delay_alu instid0(VALU_DEP_1) | instskip(SKIP_1) | instid1(VALU_DEP_1)
	v_subrev_nc_u32_e32 v4, s13, v4
	s_load_b64 s[12:13], s[0:1], 0x2c
	.loc	1 25 53                         ; matmul.py:25:53
	v_mad_co_u64_u32 v[4:5], null, v4, s7, v[1:2]
	s_delay_alu instid0(VALU_DEP_1) | instskip(NEXT) | instid1(VALU_DEP_1)
	.loc	1 25 22 is_stmt 0               ; matmul.py:25:22
	v_ashrrev_i32_e32 v5, 31, v4
	v_lshlrev_b64_e32 v[235:236], 2, v[4:5]
	s_delay_alu instid0(VALU_DEP_1) | instskip(SKIP_1) | instid1(VALU_DEP_2)
	v_add_co_u32 v47, vcc_lo, s8, v235
	s_wait_alu depctr_va_vcc(0)
	v_add_co_ci_u32_e64 v48, null, s9, v236, vcc_lo
	.loc	1 30 20 is_stmt 1               ; matmul.py:30:20
	s_and_saveexec_b32 s7, s2
	s_cbranch_execz .LBB0_16
; %bb.15:
	global_load_b32 v3, v[47:48], off
.LBB0_16:
	.loc	1 0 20 is_stmt 0                ; matmul.py:0:20
	s_wait_alu depctr_sa_sdst(0)
	s_or_b32 exec_lo, exec_lo, s7
	.loc	1 23 68 is_stmt 1               ; matmul.py:23:68
	v_mul_lo_u32 v1, v7, s14
	.loc	1 22 51                         ; matmul.py:22:51
	s_bfe_u32 s25, s17, 0x10001
	v_mov_b32_e32 v5, 0
	.loc	1 26 40                         ; matmul.py:26:40
	s_wait_kmcnt 0x0
	s_mul_i32 s2, s12, s25
	.loc	1 31 51                         ; matmul.py:31:51
	s_cmp_ge_i32 s25, s6
	s_delay_alu instid0(VALU_DEP_2) | instskip(NEXT) | instid1(VALU_DEP_1)
	.loc	1 23 68                         ; matmul.py:23:68
	v_sub_nc_u32_e32 v1, v2, v1
	v_subrev_nc_u32_e32 v2, s14, v1
	v_cmp_le_u32_e32 vcc_lo, s14, v1
	s_wait_alu depctr_va_vcc(0)
	s_delay_alu instid0(VALU_DEP_2) | instskip(NEXT) | instid1(VALU_DEP_1)
	v_cndmask_b32_e32 v1, v1, v2, vcc_lo
	v_subrev_nc_u32_e32 v2, s14, v1
	v_cmp_le_u32_e32 vcc_lo, s14, v1
	s_wait_alu depctr_va_vcc(0)
	s_delay_alu instid0(VALU_DEP_2) | instskip(NEXT) | instid1(VALU_DEP_1)
	v_cndmask_b32_e32 v1, v1, v2, vcc_lo
	v_xor_b32_e32 v1, s15, v1
	s_delay_alu instid0(VALU_DEP_1) | instskip(SKIP_1) | instid1(VALU_DEP_1)
	v_subrev_nc_u32_e32 v1, s15, v1
	.loc	1 26 52                         ; matmul.py:26:52
	s_wait_alu depctr_sa_sdst(0)
	v_mad_co_u64_u32 v[1:2], null, v1, s13, s[2:3]
	.loc	1 31 51                         ; matmul.py:31:51
	s_cselect_b32 s2, -1, 0
	.loc	1 29 22                         ; matmul.py:29:22
	s_xor_b32 s7, s26, -1
	.loc	1 31 20                         ; matmul.py:31:20
	s_wait_alu depctr_sa_sdst(0)
	s_or_b32 s2, s2, s7
	s_wait_alu depctr_sa_sdst(0)
	s_and_b32 vcc_lo, exec_lo, s2
	.loc	1 26 22                         ; matmul.py:26:22
	v_ashrrev_i32_e32 v2, 31, v1
	s_delay_alu instid0(VALU_DEP_1) | instskip(SKIP_1) | instid1(VALU_DEP_2)
	v_lshlrev_b64_e32 v[237:238], 2, v[1:2]
	v_mov_b32_e32 v2, 0
	v_add_co_u32 v161, s2, s10, v237
	s_wait_alu depctr_va_sdst(0)
	s_delay_alu instid0(VALU_DEP_3)
	v_add_co_ci_u32_e64 v162, null, s11, v238, s2
	.loc	1 31 20                         ; matmul.py:31:20
	s_wait_alu depctr_sa_sdst(0)
	s_cbranch_vccnz .LBB0_18
; %bb.17:
	global_load_b32 v5, v[161:162], off
.LBB0_18:
	.loc	1 26 52                         ; matmul.py:26:52
	v_lshl_add_u32 v7, s12, 1, v1
	.loc	1 22 51                         ; matmul.py:22:51
	s_or_b32 s18, s25, 2
	.loc	1 31 51                         ; matmul.py:31:51
	s_wait_alu depctr_sa_sdst(0)
	s_cmp_ge_i32 s18, s6
	s_cselect_b32 s2, -1, 0
	.loc	1 26 22                         ; matmul.py:26:22
	v_ashrrev_i32_e32 v8, 31, v7
	.loc	1 31 20                         ; matmul.py:31:20
	s_wait_alu depctr_sa_sdst(0)
	s_or_b32 s2, s2, s7
	s_delay_alu instid0(VALU_DEP_1) | instskip(NEXT) | instid1(VALU_DEP_1)
	.loc	1 26 22                         ; matmul.py:26:22
	v_lshlrev_b64_e32 v[239:240], 2, v[7:8]
	v_add_co_u32 v163, vcc_lo, s10, v239
	s_wait_alu depctr_va_vcc(0)
	s_delay_alu instid0(VALU_DEP_2)
	v_add_co_ci_u32_e64 v164, null, s11, v240, vcc_lo
	.loc	1 31 20                         ; matmul.py:31:20
	s_wait_alu depctr_sa_sdst(0)
	s_and_b32 vcc_lo, exec_lo, s2
	s_wait_alu depctr_sa_sdst(0)
	s_cbranch_vccnz .LBB0_20
; %bb.19:
	global_load_b32 v2, v[163:164], off
.LBB0_20:
	.loc	1 26 52                         ; matmul.py:26:52
	v_lshl_add_u32 v7, s12, 2, v1
	.loc	1 22 51                         ; matmul.py:22:51
	s_or_b32 s19, s25, 4
	v_dual_mov_b32 v49, 0 :: v_dual_mov_b32 v50, 0
	.loc	1 31 51                         ; matmul.py:31:51
	s_wait_alu depctr_sa_sdst(0)
	s_cmp_ge_i32 s19, s6
	.loc	1 26 22                         ; matmul.py:26:22
	v_ashrrev_i32_e32 v8, 31, v7
	.loc	1 31 51                         ; matmul.py:31:51
	s_cselect_b32 s2, -1, 0
	.loc	1 31 20 is_stmt 0               ; matmul.py:31:20
	s_wait_alu depctr_sa_sdst(0)
	s_or_b32 s2, s2, s7
	s_wait_alu depctr_sa_sdst(0)
	s_and_b32 vcc_lo, exec_lo, s2
	.loc	1 26 22 is_stmt 1               ; matmul.py:26:22
	v_lshlrev_b64_e32 v[241:242], 2, v[7:8]
	s_delay_alu instid0(VALU_DEP_1) | instskip(SKIP_1) | instid1(VALU_DEP_2)
	v_add_co_u32 v165, s2, s10, v241
	s_wait_alu depctr_va_sdst(0)
	v_add_co_ci_u32_e64 v166, null, s11, v242, s2
	.loc	1 31 20                         ; matmul.py:31:20
	s_wait_alu depctr_sa_sdst(0)
	s_cbranch_vccnz .LBB0_22
; %bb.21:
	global_load_b32 v50, v[165:166], off
.LBB0_22:
	.loc	1 26 52                         ; matmul.py:26:52
	s_wait_loadcnt 0x0
	v_mad_co_u64_u32 v[7:8], null, s12, 6, v[1:2]
	.loc	1 22 51                         ; matmul.py:22:51
	s_or_b32 s20, s25, 6
	s_delay_alu instid0(SALU_CYCLE_1) | instskip(SKIP_4) | instid1(VALU_DEP_1)
	.loc	1 31 51                         ; matmul.py:31:51
	s_cmp_ge_i32 s20, s6
	s_cselect_b32 s2, -1, 0
	.loc	1 31 20 is_stmt 0               ; matmul.py:31:20
	s_wait_alu depctr_sa_sdst(0)
	s_or_b32 s2, s2, s7
	.loc	1 26 22 is_stmt 1               ; matmul.py:26:22
	v_ashrrev_i32_e32 v8, 31, v7
	v_lshlrev_b64_e32 v[243:244], 2, v[7:8]
	s_delay_alu instid0(VALU_DEP_1) | instskip(SKIP_1) | instid1(VALU_DEP_2)
	v_add_co_u32 v167, vcc_lo, s10, v243
	s_wait_alu depctr_va_vcc(0)
	v_add_co_ci_u32_e64 v168, null, s11, v244, vcc_lo
	.loc	1 31 20                         ; matmul.py:31:20
	s_wait_alu depctr_sa_sdst(0)
	s_and_b32 vcc_lo, exec_lo, s2
	s_wait_alu depctr_sa_sdst(0)
	s_cbranch_vccnz .LBB0_24
; %bb.23:
	global_load_b32 v49, v[167:168], off
.LBB0_24:
	.loc	1 26 52                         ; matmul.py:26:52
	v_lshl_add_u32 v7, s12, 3, v1
	.loc	1 22 51                         ; matmul.py:22:51
	s_or_b32 s21, s25, 8
	v_dual_mov_b32 v51, 0 :: v_dual_mov_b32 v52, 0
	.loc	1 31 51                         ; matmul.py:31:51
	s_cmp_ge_i32 s21, s6
	s_delay_alu instid0(VALU_DEP_2)
	.loc	1 26 22                         ; matmul.py:26:22
	v_ashrrev_i32_e32 v8, 31, v7
	.loc	1 31 51                         ; matmul.py:31:51
	s_cselect_b32 s2, -1, 0
	.loc	1 31 20 is_stmt 0               ; matmul.py:31:20
	s_wait_alu depctr_sa_sdst(0)
	s_or_b32 s2, s2, s7
	s_wait_alu depctr_sa_sdst(0)
	s_and_b32 vcc_lo, exec_lo, s2
	.loc	1 26 22 is_stmt 1               ; matmul.py:26:22
	v_lshlrev_b64_e32 v[245:246], 2, v[7:8]
	s_delay_alu instid0(VALU_DEP_1) | instskip(SKIP_1) | instid1(VALU_DEP_2)
	v_add_co_u32 v169, s2, s10, v245
	s_wait_alu depctr_va_sdst(0)
	v_add_co_ci_u32_e64 v170, null, s11, v246, s2
	.loc	1 31 20                         ; matmul.py:31:20
	s_wait_alu depctr_sa_sdst(0)
	s_cbranch_vccnz .LBB0_26
; %bb.25:
	global_load_b32 v52, v[169:170], off
.LBB0_26:
	.loc	1 26 52                         ; matmul.py:26:52
	v_mad_co_u64_u32 v[7:8], null, s12, 10, v[1:2]
	.loc	1 22 51                         ; matmul.py:22:51
	s_or_b32 s22, s25, 10
	s_delay_alu instid0(SALU_CYCLE_1) | instskip(SKIP_4) | instid1(VALU_DEP_1)
	.loc	1 31 51                         ; matmul.py:31:51
	s_cmp_ge_i32 s22, s6
	s_cselect_b32 s2, -1, 0
	.loc	1 31 20 is_stmt 0               ; matmul.py:31:20
	s_wait_alu depctr_sa_sdst(0)
	s_or_b32 s2, s2, s7
	.loc	1 26 22 is_stmt 1               ; matmul.py:26:22
	v_ashrrev_i32_e32 v8, 31, v7
	v_lshlrev_b64_e32 v[247:248], 2, v[7:8]
	s_delay_alu instid0(VALU_DEP_1) | instskip(SKIP_1) | instid1(VALU_DEP_2)
	v_add_co_u32 v171, vcc_lo, s10, v247
	s_wait_alu depctr_va_vcc(0)
	v_add_co_ci_u32_e64 v172, null, s11, v248, vcc_lo
	.loc	1 31 20                         ; matmul.py:31:20
	s_wait_alu depctr_sa_sdst(0)
	s_and_b32 vcc_lo, exec_lo, s2
	s_wait_alu depctr_sa_sdst(0)
	s_cbranch_vccnz .LBB0_28
; %bb.27:
	global_load_b32 v51, v[171:172], off
.LBB0_28:
	.loc	1 26 52                         ; matmul.py:26:52
	v_mad_co_u64_u32 v[7:8], null, s12, 12, v[1:2]
	.loc	1 22 51                         ; matmul.py:22:51
	s_or_b32 s23, s25, 12
	v_dual_mov_b32 v53, 0 :: v_dual_mov_b32 v54, 0
	.loc	1 31 51                         ; matmul.py:31:51
	s_cmp_ge_i32 s23, s6
	s_cselect_b32 s2, -1, 0
	.loc	1 26 22                         ; matmul.py:26:22
	v_ashrrev_i32_e32 v8, 31, v7
	.loc	1 31 20                         ; matmul.py:31:20
	s_wait_alu depctr_sa_sdst(0)
	s_or_b32 s2, s2, s7
	s_wait_alu depctr_sa_sdst(0)
	s_and_b32 vcc_lo, exec_lo, s2
	.loc	1 26 22                         ; matmul.py:26:22
	v_lshlrev_b64_e32 v[249:250], 2, v[7:8]
	s_delay_alu instid0(VALU_DEP_1) | instskip(SKIP_1) | instid1(VALU_DEP_2)
	v_add_co_u32 v173, s2, s10, v249
	s_wait_alu depctr_va_sdst(0)
	v_add_co_ci_u32_e64 v174, null, s11, v250, s2
	.loc	1 31 20                         ; matmul.py:31:20
	s_wait_alu depctr_sa_sdst(0)
	s_cbranch_vccnz .LBB0_30
; %bb.29:
	global_load_b32 v54, v[173:174], off
.LBB0_30:
	.loc	1 26 52                         ; matmul.py:26:52
	v_mad_co_u64_u32 v[7:8], null, s12, 14, v[1:2]
	.loc	1 22 51                         ; matmul.py:22:51
	s_or_b32 s24, s25, 14
	s_delay_alu instid0(SALU_CYCLE_1) | instskip(SKIP_4) | instid1(VALU_DEP_1)
	.loc	1 31 51                         ; matmul.py:31:51
	s_cmp_ge_i32 s24, s6
	s_cselect_b32 s2, -1, 0
	.loc	1 31 20 is_stmt 0               ; matmul.py:31:20
	s_wait_alu depctr_sa_sdst(0)
	s_or_b32 s2, s2, s7
	.loc	1 26 22 is_stmt 1               ; matmul.py:26:22
	v_ashrrev_i32_e32 v8, 31, v7
	v_lshlrev_b64_e32 v[251:252], 2, v[7:8]
	s_delay_alu instid0(VALU_DEP_1) | instskip(SKIP_1) | instid1(VALU_DEP_2)
	v_add_co_u32 v175, vcc_lo, s10, v251
	s_wait_alu depctr_va_vcc(0)
	v_add_co_ci_u32_e64 v176, null, s11, v252, vcc_lo
	.loc	1 31 20                         ; matmul.py:31:20
	s_wait_alu depctr_sa_sdst(0)
	s_and_b32 vcc_lo, exec_lo, s2
	s_wait_alu depctr_sa_sdst(0)
	s_cbranch_vccnz .LBB0_32
; %bb.31:
	global_load_b32 v53, v[175:176], off
.LBB0_32:
	.loc	1 0 20 is_stmt 0                ; matmul.py:0:20
	v_dual_mov_b32 v4, 0 :: v_dual_lshlrev_b32 v1, 2, v17
	scratch_store_b32 off, v17, off offset:4 ; 4-byte Folded Spill
	v_dual_mov_b32 v16, 0 :: v_dual_and_b32 v181, 0x70, v17
	v_dual_mov_b32 v12, 0 :: v_dual_and_b32 v1, 0x1fc, v1
	v_mov_b32_e32 v28, 0
	v_dual_mov_b32 v8, 0 :: v_dual_mov_b32 v15, 0
	s_delay_alu instid0(VALU_DEP_3)
	.loc	1 30 20 is_stmt 1               ; matmul.py:30:20
	v_add_nc_u32_e32 v254, 0, v1
	v_dual_mov_b32 v20, 0 :: v_dual_mov_b32 v27, 0
	v_dual_mov_b32 v24, 0 :: v_dual_mov_b32 v7, 0
	ds_store_2addr_stride64_b32 v254, v9, v0 offset1:2
	ds_store_2addr_stride64_b32 v254, v11, v10 offset0:4 offset1:6
	ds_store_2addr_stride64_b32 v254, v14, v13 offset0:8 offset1:10
	;; [unrolled: 1-line block ×3, first 2 shown]
	.loc	1 31 20                         ; matmul.py:31:20
	ds_store_2addr_stride64_b32 v254, v5, v2 offset0:16 offset1:18
	v_dual_mov_b32 v32, 0 :: v_dual_mov_b32 v19, 0
	v_mov_b32_e32 v3, 0
	v_mov_b32_e32 v11, 0
	v_dual_mov_b32 v23, 0 :: v_dual_mov_b32 v2, 0
	v_dual_mov_b32 v31, 0 :: v_dual_mov_b32 v10, 0
	v_dual_mov_b32 v14, 0 :: v_dual_mov_b32 v1, 0
	v_dual_mov_b32 v26, 0 :: v_dual_mov_b32 v9, 0
	v_dual_mov_b32 v6, 0 :: v_dual_mov_b32 v13, 0
	v_dual_mov_b32 v18, 0 :: v_dual_mov_b32 v25, 0
	v_dual_mov_b32 v22, 0 :: v_dual_mov_b32 v5, 0
	v_dual_mov_b32 v30, 0 :: v_dual_mov_b32 v17, 0
	v_mov_b32_e32 v21, 0
	v_mov_b32_e32 v29, 0
	.loc	1 29 22                         ; matmul.py:29:22
	s_cmp_lt_i32 s27, 32
	.loc	1 31 20                         ; matmul.py:31:20
	s_wait_loadcnt 0x0
	ds_store_2addr_stride64_b32 v254, v50, v49 offset0:20 offset1:22
	ds_store_2addr_stride64_b32 v254, v52, v51 offset0:24 offset1:26
	;; [unrolled: 1-line block ×3, first 2 shown]
	.loc	1 29 22                         ; matmul.py:29:22
	s_cbranch_scc1 .LBB0_95
; %bb.33:                               ; %.lr.ph
	.loc	1 30 55                         ; matmul.py:30:55
	s_add_co_i32 s7, s6, -16
	v_mov_b32_e32 v2, 0
	.loc	1 30 51 is_stmt 0               ; matmul.py:30:51
	s_wait_alu depctr_sa_sdst(0)
	v_cmp_gt_u32_e32 vcc_lo, s7, v255
	v_mov_b32_e32 v0, 0
	.loc	1 33 33 is_stmt 1               ; matmul.py:33:33
	s_lshl_b32 s14, s3, 4
	s_wait_alu depctr_sa_sdst(0)
	s_ashr_i32 s15, s14, 31
	.loc	1 30 20                         ; matmul.py:30:20
	s_and_saveexec_b32 s3, vcc_lo
	s_cbranch_execz .LBB0_35
; %bb.34:
	.loc	1 33 18                         ; matmul.py:33:18
	s_wait_alu depctr_sa_sdst(0)
	s_lshl_b64 s[28:29], s[14:15], 2
	s_delay_alu instid0(SALU_CYCLE_1)
	v_add_co_u32 v0, s2, v33, s28
	s_wait_alu depctr_va_sdst(0)
	v_add_co_ci_u32_e64 v1, null, s29, v34, s2
	.loc	1 30 20                         ; matmul.py:30:20
	global_load_b32 v0, v[0:1], off
.LBB0_35:
	.loc	1 0 20 is_stmt 0                ; matmul.py:0:20
	s_wait_alu depctr_sa_sdst(0)
	s_or_b32 exec_lo, exec_lo, s3
	s_wait_loadcnt 0x0
	scratch_store_b32 off, v0, off offset:20 ; 4-byte Folded Spill
	.loc	1 30 20                         ; matmul.py:30:20
	s_and_saveexec_b32 s3, vcc_lo
	s_cbranch_execz .LBB0_37
; %bb.36:
	.loc	1 33 18 is_stmt 1               ; matmul.py:33:18
	s_lshl_b64 s[28:29], s[14:15], 2
	s_wait_alu depctr_sa_sdst(0)
	v_add_co_u32 v0, s2, v35, s28
	s_wait_alu depctr_va_sdst(0)
	v_add_co_ci_u32_e64 v1, null, s29, v36, s2
	.loc	1 30 20                         ; matmul.py:30:20
	global_load_b32 v2, v[0:1], off
.LBB0_37:
	.loc	1 0 20 is_stmt 0                ; matmul.py:0:20
	s_wait_alu depctr_sa_sdst(0)
	s_or_b32 exec_lo, exec_lo, s3
	v_dual_mov_b32 v3, 0 :: v_dual_mov_b32 v0, 0
	.loc	1 30 20                         ; matmul.py:30:20
	s_and_saveexec_b32 s3, vcc_lo
	s_cbranch_execz .LBB0_39
; %bb.38:
	.loc	1 33 18 is_stmt 1               ; matmul.py:33:18
	s_lshl_b64 s[28:29], s[14:15], 2
	s_wait_alu depctr_sa_sdst(0)
	v_add_co_u32 v0, s2, v37, s28
	s_wait_alu depctr_va_sdst(0)
	v_add_co_ci_u32_e64 v1, null, s29, v38, s2
	.loc	1 30 20                         ; matmul.py:30:20
	global_load_b32 v0, v[0:1], off
.LBB0_39:
	.loc	1 0 20 is_stmt 0                ; matmul.py:0:20
	s_wait_alu depctr_sa_sdst(0)
	s_or_b32 exec_lo, exec_lo, s3
	s_wait_loadcnt 0x0
	scratch_store_b32 off, v0, off offset:28 ; 4-byte Folded Spill
	.loc	1 30 20                         ; matmul.py:30:20
	s_and_saveexec_b32 s3, vcc_lo
	s_cbranch_execz .LBB0_41
; %bb.40:
	.loc	1 33 18 is_stmt 1               ; matmul.py:33:18
	s_lshl_b64 s[28:29], s[14:15], 2
	s_wait_alu depctr_sa_sdst(0)
	v_add_co_u32 v0, s2, v39, s28
	s_wait_alu depctr_va_sdst(0)
	v_add_co_ci_u32_e64 v1, null, s29, v40, s2
	.loc	1 30 20                         ; matmul.py:30:20
	global_load_b32 v3, v[0:1], off
.LBB0_41:
	.loc	1 0 20 is_stmt 0                ; matmul.py:0:20
	s_wait_alu depctr_sa_sdst(0)
	s_or_b32 exec_lo, exec_lo, s3
	v_mov_b32_e32 v4, 0
	v_mov_b32_e32 v0, 0
	.loc	1 30 20                         ; matmul.py:30:20
	s_and_saveexec_b32 s3, vcc_lo
	s_cbranch_execz .LBB0_43
; %bb.42:
	.loc	1 33 18 is_stmt 1               ; matmul.py:33:18
	s_lshl_b64 s[28:29], s[14:15], 2
	s_wait_alu depctr_sa_sdst(0)
	v_add_co_u32 v0, s2, v41, s28
	s_wait_alu depctr_va_sdst(0)
	v_add_co_ci_u32_e64 v1, null, s29, v42, s2
	.loc	1 30 20                         ; matmul.py:30:20
	global_load_b32 v0, v[0:1], off
.LBB0_43:
	.loc	1 0 20 is_stmt 0                ; matmul.py:0:20
	s_wait_alu depctr_sa_sdst(0)
	s_or_b32 exec_lo, exec_lo, s3
	s_wait_loadcnt 0x0
	scratch_store_b32 off, v0, off offset:36 ; 4-byte Folded Spill
	.loc	1 30 20                         ; matmul.py:30:20
	s_and_saveexec_b32 s3, vcc_lo
	s_cbranch_execz .LBB0_45
; %bb.44:
	.loc	1 33 18 is_stmt 1               ; matmul.py:33:18
	s_lshl_b64 s[28:29], s[14:15], 2
	s_wait_alu depctr_sa_sdst(0)
	v_add_co_u32 v0, s2, v43, s28
	s_wait_alu depctr_va_sdst(0)
	v_add_co_ci_u32_e64 v1, null, s29, v44, s2
	.loc	1 30 20                         ; matmul.py:30:20
	global_load_b32 v4, v[0:1], off
.LBB0_45:
	.loc	1 0 20 is_stmt 0                ; matmul.py:0:20
	s_wait_alu depctr_sa_sdst(0)
	s_or_b32 exec_lo, exec_lo, s3
	v_dual_mov_b32 v5, 0 :: v_dual_mov_b32 v0, 0
	.loc	1 30 20                         ; matmul.py:30:20
	s_and_saveexec_b32 s3, vcc_lo
	s_cbranch_execz .LBB0_47
; %bb.46:
	.loc	1 33 18 is_stmt 1               ; matmul.py:33:18
	s_lshl_b64 s[28:29], s[14:15], 2
	s_wait_alu depctr_sa_sdst(0)
	v_add_co_u32 v0, s2, v45, s28
	s_wait_alu depctr_va_sdst(0)
	v_add_co_ci_u32_e64 v1, null, s29, v46, s2
	.loc	1 30 20                         ; matmul.py:30:20
	global_load_b32 v0, v[0:1], off
.LBB0_47:
	.loc	1 0 20 is_stmt 0                ; matmul.py:0:20
	s_wait_alu depctr_sa_sdst(0)
	s_or_b32 exec_lo, exec_lo, s3
	s_wait_loadcnt 0x0
	scratch_store_b32 off, v0, off offset:44 ; 4-byte Folded Spill
	.loc	1 30 20                         ; matmul.py:30:20
	s_and_saveexec_b32 s2, vcc_lo
	s_cbranch_execz .LBB0_49
; %bb.48:
	.loc	1 33 18 is_stmt 1               ; matmul.py:33:18
	s_lshl_b64 s[28:29], s[14:15], 2
	s_wait_alu depctr_sa_sdst(0)
	v_add_co_u32 v0, vcc_lo, v47, s28
	s_wait_alu depctr_va_vcc(0)
	v_add_co_ci_u32_e64 v1, null, s29, v48, vcc_lo
	.loc	1 30 20                         ; matmul.py:30:20
	global_load_b32 v5, v[0:1], off
.LBB0_49:
	.loc	1 0 20 is_stmt 0                ; matmul.py:0:20
	s_wait_alu depctr_sa_sdst(0)
	s_or_b32 exec_lo, exec_lo, s2
	.loc	1 30 20                         ; matmul.py:30:20
	s_wait_storecnt 0x0
	s_wait_loadcnt_dscnt 0x0
	s_barrier_signal -1
	v_lshlrev_b32_e32 v0, 4, v181
	.loc	1 34 33 is_stmt 1               ; matmul.py:34:33
	s_lshl_b32 s2, s12, 4
	v_mov_b32_e32 v6, 0
	s_wait_alu depctr_sa_sdst(0)
	s_ashr_i32 s3, s2, 31
	.loc	1 31 51                         ; matmul.py:31:51
	s_cmp_ge_u32 s25, s7
	v_dual_mov_b32 v0, 0 :: v_dual_add_nc_u32 v253, 0, v0
	.loc	1 30 20                         ; matmul.py:30:20
	s_barrier_wait -1
	global_inv scope:SCOPE_SE
	ds_load_b128 v[129:132], v253
	ds_load_b128 v[97:100], v253 offset:16
	ds_load_b128 v[65:68], v253 offset:32
	;; [unrolled: 1-line block ×31, first 2 shown]
	.loc	1 31 20                         ; matmul.py:31:20
	s_cbranch_scc0 .LBB0_162
; %bb.50:
	.loc	1 31 51 is_stmt 0               ; matmul.py:31:51
	s_cmp_ge_u32 s18, s7
	scratch_store_b32 off, v0, off offset:52 ; 4-byte Folded Spill
	.loc	1 31 20                         ; matmul.py:31:20
	s_cbranch_scc0 .LBB0_163
.LBB0_51:
	.loc	1 0 20                          ; matmul.py:0:20
	v_dual_mov_b32 v7, 0 :: v_dual_mov_b32 v0, 0
	.loc	1 31 51                         ; matmul.py:31:51
	s_cmp_ge_u32 s19, s7
	.loc	1 31 20                         ; matmul.py:31:20
	s_cbranch_scc0 .LBB0_164
.LBB0_52:
	.loc	1 31 51                         ; matmul.py:31:51
	s_cmp_ge_u32 s20, s7
	scratch_store_b32 off, v0, off offset:60 ; 4-byte Folded Spill
	.loc	1 31 20                         ; matmul.py:31:20
	s_cbranch_scc0 .LBB0_165
.LBB0_53:
	.loc	1 0 20                          ; matmul.py:0:20
	v_mov_b32_e32 v8, 0
	v_mov_b32_e32 v0, 0
	.loc	1 31 51                         ; matmul.py:31:51
	s_cmp_ge_u32 s21, s7
	.loc	1 31 20                         ; matmul.py:31:20
	s_cbranch_scc0 .LBB0_166
.LBB0_54:
	.loc	1 31 51                         ; matmul.py:31:51
	s_cmp_ge_u32 s22, s7
	scratch_store_b32 off, v0, off offset:68 ; 4-byte Folded Spill
	.loc	1 31 20                         ; matmul.py:31:20
	s_cbranch_scc0 .LBB0_167
.LBB0_55:
	.loc	1 0 20                          ; matmul.py:0:20
	v_dual_mov_b32 v9, 0 :: v_dual_mov_b32 v0, 0
	.loc	1 31 51                         ; matmul.py:31:51
	s_cmp_ge_u32 s23, s7
	.loc	1 31 20                         ; matmul.py:31:20
	s_cbranch_scc1 .LBB0_57
.LBB0_56:
	.loc	1 34 18 is_stmt 1               ; matmul.py:34:18
	s_wait_alu depctr_sa_sdst(0)
	s_lshl_b64 s[12:13], s[2:3], 2
	s_wait_alu depctr_sa_sdst(0)
	v_add_co_u32 v0, vcc_lo, v173, s12
	s_wait_alu depctr_va_vcc(0)
	v_add_co_ci_u32_e64 v1, null, s13, v174, vcc_lo
	.loc	1 31 20                         ; matmul.py:31:20
	global_load_b32 v0, v[0:1], off
.LBB0_57:
	.loc	1 31 51 is_stmt 0               ; matmul.py:31:51
	s_cmp_ge_u32 s24, s7
	s_wait_loadcnt 0x0
	s_clause 0xa                            ; 52-byte Folded Spill
	scratch_store_b32 off, v0, off offset:72
	scratch_store_b32 off, v8, off offset:64
	scratch_store_b32 off, v7, off offset:56
	scratch_store_b32 off, v6, off offset:48
	scratch_store_b32 off, v5, off offset:40
	scratch_store_b32 off, v4, off offset:32
	scratch_store_b32 off, v3, off offset:24
	scratch_store_b32 off, v2, off offset:16
	scratch_store_b32 off, v181, off offset:12
	scratch_store_b64 off, v[179:180], off offset:84
	scratch_store_b64 off, v[177:178], off offset:76
	.loc	1 31 20                         ; matmul.py:31:20
	s_cbranch_scc1 .LBB0_59
; %bb.58:
	.loc	1 34 18 is_stmt 1               ; matmul.py:34:18
	s_wait_alu depctr_sa_sdst(0)
	s_lshl_b64 s[12:13], s[2:3], 2
	s_wait_alu depctr_sa_sdst(0)
	v_add_co_u32 v0, vcc_lo, v175, s12
	s_wait_alu depctr_va_vcc(0)
	v_add_co_ci_u32_e64 v1, null, s13, v176, vcc_lo
	.loc	1 31 20                         ; matmul.py:31:20
	global_load_b32 v9, v[0:1], off
.LBB0_59:
	.loc	1 0 20 is_stmt 0                ; matmul.py:0:20
	v_lshlrev_b32_e32 v0, 4, v255
.Ltmp14:
	.loc	2 43 30 is_stmt 1               ; standard.py:43:30 @[ matmul.py:29:33 ]
	s_ashr_i32 s7, s27, 31
	s_wait_alu depctr_sa_sdst(0)
	s_lshr_b32 s7, s7, 28
	s_wait_alu depctr_sa_sdst(0)
	s_add_co_i32 s27, s27, s7
.Ltmp15:
	.loc	1 31 20                         ; matmul.py:31:20
	v_add_nc_u32_e32 v0, 0, v0
.Ltmp16:
	.loc	2 43 30                         ; standard.py:43:30 @[ matmul.py:29:33 ]
	s_ashr_i32 s7, s27, 4
.Ltmp17:
	.loc	1 31 20                         ; matmul.py:31:20
	ds_load_b128 v[189:192], v0 offset:4096
	ds_load_b128 v[185:188], v0 offset:4352
	;; [unrolled: 1-line block ×16, first 2 shown]
	.loc	1 29 22                         ; matmul.py:29:22
	s_wait_alu depctr_sa_sdst(0)
	s_max_i32 s7, s7, 2
	s_wait_alu depctr_sa_sdst(0)
	s_cmp_eq_u32 s7, 2
	.loc	1 32 35                         ; matmul.py:32:35
	s_wait_dscnt 0xf
	v_fma_f32 v29, v129, v189, 0
	v_fma_f32 v22, v137, v190, 0
	;; [unrolled: 1-line block ×5, first 2 shown]
	s_wait_dscnt 0xe
	v_fmac_f32_e32 v29, v130, v185
	v_fmac_f32_e32 v22, v138, v186
	v_fma_f32 v14, v141, v190, 0
	v_fma_f32 v21, v129, v190, 0
	;; [unrolled: 1-line block ×3, first 2 shown]
	s_wait_dscnt 0xd
	v_fmac_f32_e32 v29, v131, v181
	v_dual_fmac_f32 v17, v130, v187 :: v_dual_fmac_f32 v22, v139, v182
	s_wait_loadcnt 0x0
	v_dual_fmac_f32 v6, v138, v188 :: v_dual_mov_b32 v129, v9
	v_fma_f32 v9, v133, v191, 0
	v_fma_f32 v2, v141, v192, 0
	v_fmac_f32_e32 v17, v131, v183
	s_delay_alu instid0(VALU_DEP_4) | instskip(SKIP_3) | instid1(VALU_DEP_4)
	v_dual_fmac_f32 v25, v134, v185 :: v_dual_fmac_f32 v6, v139, v184
	v_fmac_f32_e32 v14, v142, v186
	v_fma_f32 v31, v145, v189, 0
	v_fma_f32 v24, v153, v190, 0
	v_fmac_f32_e32 v25, v135, v181
	s_delay_alu instid0(VALU_DEP_4) | instskip(SKIP_3) | instid1(VALU_DEP_4)
	v_dual_fmac_f32 v9, v134, v187 :: v_dual_fmac_f32 v14, v143, v182
	v_fmac_f32_e32 v2, v142, v188
	;; [unrolled: 6-line block ×4, first 2 shown]
	v_fma_f32 v11, v149, v191, 0
	v_fma_f32 v4, v157, v192, 0
	v_fmac_f32_e32 v19, v147, v183
	s_delay_alu instid0(VALU_DEP_4) | instskip(SKIP_2) | instid1(VALU_DEP_2)
	v_dual_fmac_f32 v27, v150, v185 :: v_dual_fmac_f32 v8, v155, v184
	s_wait_dscnt 0xc
	v_dual_fmac_f32 v16, v158, v186 :: v_dual_fmac_f32 v29, v132, v177
	v_dual_fmac_f32 v22, v140, v178 :: v_dual_fmac_f32 v27, v151, v181
	s_delay_alu instid0(VALU_DEP_2) | instskip(SKIP_1) | instid1(VALU_DEP_3)
	v_dual_fmac_f32 v11, v150, v187 :: v_dual_fmac_f32 v16, v159, v182
	s_wait_dscnt 0xb
	v_dual_fmac_f32 v4, v158, v188 :: v_dual_fmac_f32 v29, v97, v173
	s_delay_alu instid0(VALU_DEP_3) | instskip(NEXT) | instid1(VALU_DEP_3)
	v_dual_fmac_f32 v17, v132, v179 :: v_dual_fmac_f32 v22, v105, v174
	v_fmac_f32_e32 v11, v151, v183
	s_delay_alu instid0(VALU_DEP_3) | instskip(NEXT) | instid1(VALU_DEP_3)
	v_fmac_f32_e32 v4, v159, v184
	v_dual_fmac_f32 v6, v140, v180 :: v_dual_fmac_f32 v17, v97, v175
	v_fmac_f32_e32 v25, v136, v177
	v_fma_f32 v23, v145, v190, 0
	v_fma_f32 v7, v145, v192, 0
	s_delay_alu instid0(VALU_DEP_4) | instskip(NEXT) | instid1(VALU_DEP_4)
	v_fmac_f32_e32 v6, v105, v176
	v_dual_fmac_f32 v14, v144, v178 :: v_dual_fmac_f32 v25, v101, v173
	v_fmac_f32_e32 v9, v136, v179
	v_fma_f32 v32, v153, v189, 0
	v_fma_f32 v20, v153, v191, 0
	s_delay_alu instid0(VALU_DEP_4) | instskip(NEXT) | instid1(VALU_DEP_4)
	v_fmac_f32_e32 v14, v109, v174
	v_dual_fmac_f32 v2, v144, v180 :: v_dual_fmac_f32 v9, v101, v175
	v_fmac_f32_e32 v31, v148, v177
	v_fmac_f32_e32 v32, v154, v185
	s_delay_alu instid0(VALU_DEP_3) | instskip(NEXT) | instid1(VALU_DEP_3)
	v_dual_fmac_f32 v23, v146, v186 :: v_dual_fmac_f32 v2, v109, v176
	v_dual_fmac_f32 v24, v156, v178 :: v_dual_fmac_f32 v31, v113, v173
	v_fmac_f32_e32 v19, v148, v179
	v_fmac_f32_e32 v20, v154, v187
	s_delay_alu instid0(VALU_DEP_3) | instskip(NEXT) | instid1(VALU_DEP_3)
	v_dual_fmac_f32 v7, v146, v188 :: v_dual_fmac_f32 v24, v121, v174
	v_dual_fmac_f32 v8, v156, v180 :: v_dual_fmac_f32 v19, v113, v175
	v_fmac_f32_e32 v27, v152, v177
	v_fmac_f32_e32 v32, v155, v181
	s_wait_dscnt 0xa
	s_delay_alu instid0(VALU_DEP_3) | instskip(NEXT) | instid1(VALU_DEP_3)
	v_dual_fmac_f32 v29, v98, v169 :: v_dual_fmac_f32 v8, v121, v176
	v_dual_fmac_f32 v16, v160, v178 :: v_dual_fmac_f32 v27, v117, v173
	v_dual_fmac_f32 v11, v152, v179 :: v_dual_fmac_f32 v22, v106, v170
	s_wait_dscnt 0x9
	s_delay_alu instid0(VALU_DEP_2) | instskip(NEXT) | instid1(VALU_DEP_2)
	v_dual_fmac_f32 v29, v99, v165 :: v_dual_fmac_f32 v16, v125, v174
	v_dual_fmac_f32 v4, v160, v180 :: v_dual_fmac_f32 v11, v117, v175
	s_delay_alu instid0(VALU_DEP_3) | instskip(SKIP_1) | instid1(VALU_DEP_3)
	v_dual_fmac_f32 v17, v98, v171 :: v_dual_fmac_f32 v22, v107, v166
	v_fmac_f32_e32 v6, v106, v172
	v_dual_fmac_f32 v4, v125, v176 :: v_dual_fmac_f32 v23, v147, v182
	s_delay_alu instid0(VALU_DEP_3) | instskip(NEXT) | instid1(VALU_DEP_3)
	v_fmac_f32_e32 v17, v99, v167
	v_dual_fmac_f32 v25, v102, v169 :: v_dual_fmac_f32 v6, v107, v168
	v_fmac_f32_e32 v14, v110, v170
	v_fmac_f32_e32 v20, v155, v183
	v_fmac_f32_e32 v7, v147, v184
	s_delay_alu instid0(VALU_DEP_4) | instskip(NEXT) | instid1(VALU_DEP_4)
	v_fmac_f32_e32 v25, v103, v165
	v_dual_fmac_f32 v9, v102, v171 :: v_dual_fmac_f32 v14, v111, v166
	v_fmac_f32_e32 v2, v110, v172
	v_fmac_f32_e32 v32, v156, v177
	v_fmac_f32_e32 v23, v148, v178
	s_delay_alu instid0(VALU_DEP_4) | instskip(NEXT) | instid1(VALU_DEP_4)
	;; [unrolled: 6-line block ×4, first 2 shown]
	v_fmac_f32_e32 v19, v115, v167
	v_dual_fmac_f32 v27, v118, v169 :: v_dual_fmac_f32 v8, v123, v168
	s_wait_dscnt 0x8
	v_dual_fmac_f32 v16, v126, v170 :: v_dual_fmac_f32 v29, v100, v161
	s_delay_alu instid0(VALU_DEP_2) | instskip(NEXT) | instid1(VALU_DEP_2)
	v_dual_fmac_f32 v22, v108, v162 :: v_dual_fmac_f32 v27, v119, v165
	v_dual_fmac_f32 v11, v118, v171 :: v_dual_fmac_f32 v16, v127, v166
	s_wait_dscnt 0x7
	s_delay_alu instid0(VALU_DEP_3) | instskip(NEXT) | instid1(VALU_DEP_3)
	v_dual_fmac_f32 v4, v126, v172 :: v_dual_fmac_f32 v29, v65, v197
	v_dual_fmac_f32 v17, v100, v163 :: v_dual_fmac_f32 v22, v73, v198
	s_delay_alu instid0(VALU_DEP_3) | instskip(NEXT) | instid1(VALU_DEP_3)
	v_fmac_f32_e32 v11, v119, v167
	v_fmac_f32_e32 v4, v127, v168
	s_delay_alu instid0(VALU_DEP_3) | instskip(SKIP_2) | instid1(VALU_DEP_3)
	v_dual_fmac_f32 v6, v108, v164 :: v_dual_fmac_f32 v17, v65, v199
	v_dual_fmac_f32 v25, v104, v161 :: v_dual_fmac_f32 v20, v121, v175
	v_fmac_f32_e32 v7, v113, v176
	v_fmac_f32_e32 v6, v73, v200
	s_delay_alu instid0(VALU_DEP_3) | instskip(SKIP_2) | instid1(VALU_DEP_3)
	v_dual_fmac_f32 v14, v112, v162 :: v_dual_fmac_f32 v25, v69, v197
	v_dual_fmac_f32 v9, v104, v163 :: v_dual_fmac_f32 v32, v122, v169
	;; [unrolled: 5-line block ×4, first 2 shown]
	v_fmac_f32_e32 v23, v115, v166
	v_fmac_f32_e32 v24, v89, v198
	s_delay_alu instid0(VALU_DEP_3)
	v_dual_fmac_f32 v8, v124, v164 :: v_dual_fmac_f32 v19, v81, v199
	v_fmac_f32_e32 v27, v120, v161
	s_wait_dscnt 0x6
	v_fmac_f32_e32 v29, v66, v193
	v_fmac_f32_e32 v22, v74, v194
	;; [unrolled: 1-line block ×3, first 2 shown]
	v_dual_fmac_f32 v16, v128, v162 :: v_dual_fmac_f32 v27, v85, v197
	v_fmac_f32_e32 v11, v120, v163
	s_wait_dscnt 0x5
	v_fmac_f32_e32 v29, v67, v205
	v_dual_fmac_f32 v17, v66, v195 :: v_dual_fmac_f32 v22, v75, v206
	v_fmac_f32_e32 v16, v93, v198
	v_dual_fmac_f32 v4, v128, v164 :: v_dual_fmac_f32 v11, v85, v199
	s_delay_alu instid0(VALU_DEP_3) | instskip(NEXT) | instid1(VALU_DEP_2)
	v_dual_fmac_f32 v6, v74, v196 :: v_dual_fmac_f32 v17, v67, v207
	v_dual_fmac_f32 v25, v70, v193 :: v_dual_fmac_f32 v4, v93, v200
	v_fmac_f32_e32 v20, v123, v167
	s_delay_alu instid0(VALU_DEP_3) | instskip(NEXT) | instid1(VALU_DEP_3)
	v_fmac_f32_e32 v6, v75, v208
	v_dual_fmac_f32 v14, v78, v194 :: v_dual_fmac_f32 v25, v71, v205
	v_fmac_f32_e32 v9, v70, v195
	v_dual_fmac_f32 v7, v115, v168 :: v_dual_fmac_f32 v32, v124, v161
	s_delay_alu instid0(VALU_DEP_3) | instskip(NEXT) | instid1(VALU_DEP_3)
	v_fmac_f32_e32 v14, v79, v206
	v_dual_fmac_f32 v2, v78, v196 :: v_dual_fmac_f32 v9, v71, v207
	v_fmac_f32_e32 v31, v82, v193
	s_delay_alu instid0(VALU_DEP_4) | instskip(NEXT) | instid1(VALU_DEP_3)
	v_dual_fmac_f32 v23, v116, v162 :: v_dual_fmac_f32 v32, v89, v197
	v_fmac_f32_e32 v2, v79, v208
	s_delay_alu instid0(VALU_DEP_3) | instskip(SKIP_2) | instid1(VALU_DEP_3)
	v_dual_fmac_f32 v24, v90, v194 :: v_dual_fmac_f32 v31, v83, v205
	v_fmac_f32_e32 v19, v82, v195
	v_fmac_f32_e32 v20, v124, v163
	v_dual_fmac_f32 v7, v116, v164 :: v_dual_fmac_f32 v24, v91, v206
	s_delay_alu instid0(VALU_DEP_3)
	v_dual_fmac_f32 v8, v90, v196 :: v_dual_fmac_f32 v19, v83, v207
	v_fmac_f32_e32 v27, v86, v193
	s_wait_dscnt 0x4
	v_fmac_f32_e32 v29, v68, v201
	v_fmac_f32_e32 v22, v76, v202
	;; [unrolled: 1-line block ×3, first 2 shown]
	v_dual_fmac_f32 v16, v94, v194 :: v_dual_fmac_f32 v27, v87, v205
	v_fmac_f32_e32 v11, v86, v195
	s_wait_dscnt 0x3
	v_fmac_f32_e32 v29, v45, v221
	v_dual_fmac_f32 v17, v68, v203 :: v_dual_fmac_f32 v22, v53, v222
	v_fmac_f32_e32 v16, v95, v206
	v_dual_fmac_f32 v4, v94, v196 :: v_dual_fmac_f32 v11, v87, v207
	s_delay_alu instid0(VALU_DEP_3) | instskip(NEXT) | instid1(VALU_DEP_2)
	v_dual_fmac_f32 v6, v76, v204 :: v_dual_fmac_f32 v17, v45, v223
	v_dual_fmac_f32 v25, v72, v201 :: v_dual_fmac_f32 v4, v95, v208
	v_fmac_f32_e32 v23, v81, v198
	s_delay_alu instid0(VALU_DEP_3) | instskip(NEXT) | instid1(VALU_DEP_3)
	v_fmac_f32_e32 v6, v53, v224
	v_dual_fmac_f32 v14, v80, v202 :: v_dual_fmac_f32 v25, v49, v221
	v_fmac_f32_e32 v9, v72, v203
	v_fmac_f32_e32 v20, v89, v199
	;; [unrolled: 1-line block ×3, first 2 shown]
	s_delay_alu instid0(VALU_DEP_4) | instskip(NEXT) | instid1(VALU_DEP_4)
	v_fmac_f32_e32 v14, v57, v222
	v_dual_fmac_f32 v2, v80, v204 :: v_dual_fmac_f32 v9, v49, v223
	v_fmac_f32_e32 v31, v84, v201
	v_fmac_f32_e32 v32, v90, v193
	s_delay_alu instid0(VALU_DEP_3) | instskip(NEXT) | instid1(VALU_DEP_3)
	v_dual_fmac_f32 v23, v82, v194 :: v_dual_fmac_f32 v2, v57, v224
	v_dual_fmac_f32 v24, v92, v202 :: v_dual_fmac_f32 v31, v33, v221
	v_fmac_f32_e32 v19, v84, v203
	v_fmac_f32_e32 v20, v90, v195
	s_delay_alu instid0(VALU_DEP_3) | instskip(NEXT) | instid1(VALU_DEP_3)
	v_dual_fmac_f32 v7, v82, v196 :: v_dual_fmac_f32 v24, v41, v222
	v_dual_fmac_f32 v8, v92, v204 :: v_dual_fmac_f32 v19, v33, v223
	v_fmac_f32_e32 v27, v88, v201
	v_fmac_f32_e32 v32, v91, v205
	s_wait_dscnt 0x2
	s_delay_alu instid0(VALU_DEP_3) | instskip(NEXT) | instid1(VALU_DEP_3)
	v_dual_fmac_f32 v29, v46, v213 :: v_dual_fmac_f32 v8, v41, v224
	v_dual_fmac_f32 v16, v96, v202 :: v_dual_fmac_f32 v27, v37, v221
	;; [unrolled: 1-line block ×3, first 2 shown]
	s_wait_dscnt 0x1
	s_delay_alu instid0(VALU_DEP_2) | instskip(NEXT) | instid1(VALU_DEP_2)
	v_dual_fmac_f32 v29, v47, v217 :: v_dual_fmac_f32 v16, v61, v222
	v_dual_fmac_f32 v4, v96, v204 :: v_dual_fmac_f32 v11, v37, v223
	s_delay_alu instid0(VALU_DEP_3) | instskip(NEXT) | instid1(VALU_DEP_2)
	v_dual_fmac_f32 v17, v46, v215 :: v_dual_fmac_f32 v22, v55, v218
	v_dual_fmac_f32 v23, v83, v206 :: v_dual_fmac_f32 v4, v61, v224
	v_fmac_f32_e32 v20, v91, v207
	v_fmac_f32_e32 v7, v83, v208
	s_delay_alu instid0(VALU_DEP_4)
	v_dual_fmac_f32 v6, v54, v216 :: v_dual_fmac_f32 v17, v47, v219
	v_fmac_f32_e32 v25, v50, v213
	v_fmac_f32_e32 v32, v92, v201
	;; [unrolled: 1-line block ×6, first 2 shown]
	v_dual_fmac_f32 v14, v58, v214 :: v_dual_fmac_f32 v25, v51, v217
	v_dual_fmac_f32 v9, v50, v215 :: v_dual_fmac_f32 v32, v41, v221
	v_fmac_f32_e32 v23, v33, v222
	v_fmac_f32_e32 v20, v41, v223
	s_delay_alu instid0(VALU_DEP_4) | instskip(NEXT) | instid1(VALU_DEP_4)
	v_dual_fmac_f32 v7, v33, v224 :: v_dual_fmac_f32 v14, v59, v218
	v_dual_fmac_f32 v2, v58, v216 :: v_dual_fmac_f32 v9, v51, v219
	v_fmac_f32_e32 v31, v34, v213
	v_fmac_f32_e32 v32, v42, v213
	;; [unrolled: 1-line block ×6, first 2 shown]
	v_dual_fmac_f32 v24, v42, v214 :: v_dual_fmac_f32 v31, v35, v217
	v_fmac_f32_e32 v19, v34, v215
	v_fma_f32 v13, v133, v190, 0
	v_fma_f32 v1, v133, v192, 0
	;; [unrolled: 1-line block ×10, first 2 shown]
	v_fmac_f32_e32 v30, v138, v185
	v_fmac_f32_e32 v21, v130, v186
	;; [unrolled: 1-line block ×11, first 2 shown]
	v_dual_fmac_f32 v3, v150, v188 :: v_dual_fmac_f32 v30, v139, v181
	v_fmac_f32_e32 v21, v131, v182
	v_fmac_f32_e32 v18, v139, v183
	v_fmac_f32_e32 v5, v131, v184
	v_fmac_f32_e32 v26, v143, v181
	v_fmac_f32_e32 v13, v135, v182
	v_fmac_f32_e32 v10, v143, v183
	v_fmac_f32_e32 v1, v135, v184
	v_fmac_f32_e32 v28, v159, v181
	v_fmac_f32_e32 v15, v151, v182
	v_fmac_f32_e32 v12, v159, v183
	v_dual_fmac_f32 v3, v151, v184 :: v_dual_fmac_f32 v30, v140, v177
	v_fmac_f32_e32 v21, v132, v178
	v_fmac_f32_e32 v18, v140, v179
	v_fmac_f32_e32 v5, v132, v180
	v_fmac_f32_e32 v26, v144, v177
	v_fmac_f32_e32 v13, v136, v178
	v_fmac_f32_e32 v10, v144, v179
	v_fmac_f32_e32 v1, v136, v180
	v_fmac_f32_e32 v28, v160, v177
	v_fmac_f32_e32 v15, v152, v178
	v_fmac_f32_e32 v12, v160, v179
	;; [unrolled: 11-line block ×10, first 2 shown]
	v_dual_fmac_f32 v3, v88, v204 :: v_dual_fmac_f32 v24, v43, v218
	v_dual_fmac_f32 v8, v42, v216 :: v_dual_fmac_f32 v19, v35, v219
	v_fmac_f32_e32 v30, v53, v221
	v_fmac_f32_e32 v21, v45, v222
	;; [unrolled: 1-line block ×12, first 2 shown]
	v_dual_fmac_f32 v27, v38, v213 :: v_dual_fmac_f32 v8, v43, v220
	v_fmac_f32_e32 v16, v62, v214
	v_fmac_f32_e32 v30, v54, v213
	;; [unrolled: 1-line block ×14, first 2 shown]
	v_dual_fmac_f32 v11, v38, v215 :: v_dual_fmac_f32 v16, v63, v218
	v_fmac_f32_e32 v4, v62, v216
	v_fmac_f32_e32 v30, v55, v217
	;; [unrolled: 1-line block ×18, first 2 shown]
	s_wait_dscnt 0x0
	v_dual_fmac_f32 v4, v63, v220 :: v_dual_fmac_f32 v29, v48, v209
	v_fmac_f32_e32 v21, v48, v210
	v_fmac_f32_e32 v17, v48, v211
	;; [unrolled: 1-line block ×31, first 2 shown]
	.loc	1 30 20                         ; matmul.py:30:20
	s_wait_storecnt 0x0
	s_barrier_signal -1
	s_barrier_wait -1
	global_inv scope:SCOPE_SE
	s_clause 0x1                            ; 8-byte Folded Reload
	scratch_load_b32 v33, off, off offset:16 th:TH_LOAD_LU
	scratch_load_b32 v34, off, off offset:20 th:TH_LOAD_LU
	s_wait_loadcnt 0x0
	ds_store_2addr_stride64_b32 v254, v34, v33 offset1:2
	s_clause 0x1                            ; 8-byte Folded Reload
	scratch_load_b32 v33, off, off offset:24 th:TH_LOAD_LU
	scratch_load_b32 v34, off, off offset:28 th:TH_LOAD_LU
	s_wait_loadcnt 0x0
	ds_store_2addr_stride64_b32 v254, v34, v33 offset0:4 offset1:6
	s_clause 0x1                            ; 8-byte Folded Reload
	scratch_load_b32 v33, off, off offset:32 th:TH_LOAD_LU
	scratch_load_b32 v34, off, off offset:36 th:TH_LOAD_LU
	s_wait_loadcnt 0x0
	ds_store_2addr_stride64_b32 v254, v34, v33 offset0:8 offset1:10
	;; [unrolled: 5-line block ×3, first 2 shown]
	.loc	1 31 20                         ; matmul.py:31:20
	s_clause 0x1                            ; 8-byte Folded Reload
	scratch_load_b32 v33, off, off offset:48 th:TH_LOAD_LU
	scratch_load_b32 v34, off, off offset:52 th:TH_LOAD_LU
	s_wait_loadcnt 0x0
	ds_store_2addr_stride64_b32 v254, v34, v33 offset0:16 offset1:18
	s_clause 0x1                            ; 8-byte Folded Reload
	scratch_load_b32 v33, off, off offset:56 th:TH_LOAD_LU
	scratch_load_b32 v34, off, off offset:60 th:TH_LOAD_LU
	s_wait_loadcnt 0x0
	ds_store_2addr_stride64_b32 v254, v34, v33 offset0:20 offset1:22
	;; [unrolled: 5-line block ×3, first 2 shown]
	scratch_load_b32 v33, off, off offset:72 th:TH_LOAD_LU ; 4-byte Folded Reload
	s_wait_loadcnt 0x0
	ds_store_2addr_stride64_b32 v254, v33, v129 offset0:28 offset1:30
	.loc	1 29 22                         ; matmul.py:29:22
	s_cbranch_scc1 .LBB0_94
; %bb.60:                               ; %.peel.next
	.loc	1 0 22 is_stmt 0                ; matmul.py:0:22
	s_clause 0x1                            ; 16-byte Folded Reload
	scratch_load_b64 v[185:186], off, off offset:76
	scratch_load_b64 v[187:188], off, off offset:84
	.loc	1 29 22                         ; matmul.py:29:22
	s_lshl_b64 s[12:13], s[2:3], 3
	s_lshl_b64 s[28:29], s[14:15], 3
	s_wait_alu depctr_sa_sdst(0)
	s_add_nc_u64 s[10:11], s[10:11], s[12:13]
	s_lshl_b64 s[12:13], s[2:3], 2
	s_add_nc_u64 s[8:9], s[8:9], s[28:29]
	s_lshl_b64 s[14:15], s[14:15], 2
	s_add_co_i32 s3, s7, -2
	s_sub_co_i32 s6, s6, 32
	s_branch .LBB0_62
.LBB0_61:                               ;   in Loop: Header=BB0_62 Depth=1
	.loc	1 31 20 is_stmt 1               ; matmul.py:31:20
	ds_load_b128 v[161:164], v0 offset:4096
	ds_load_b128 v[181:184], v0 offset:4352
	.loc	1 29 22                         ; matmul.py:29:22
	s_add_co_i32 s3, s3, -1
	s_add_co_i32 s6, s6, -16
	s_add_nc_u64 s[10:11], s[10:11], s[12:13]
	s_add_nc_u64 s[8:9], s[8:9], s[14:15]
	s_wait_alu depctr_sa_sdst(0)
	s_cmp_lg_u32 s3, 0
	.loc	1 32 35                         ; matmul.py:32:35
	s_wait_dscnt 0x1
	v_fmac_f32_e32 v30, v137, v161
	v_fmac_f32_e32 v21, v129, v162
	;; [unrolled: 1-line block ×31, first 2 shown]
	s_wait_dscnt 0x0
	v_dual_fmac_f32 v11, v149, v163 :: v_dual_fmac_f32 v30, v138, v181
	v_fmac_f32_e32 v21, v130, v182
	v_fmac_f32_e32 v22, v138, v182
	;; [unrolled: 1-line block ×31, first 2 shown]
	.loc	1 31 20                         ; matmul.py:31:20
	ds_load_b128 v[161:164], v0 offset:4608
	ds_load_b128 v[181:184], v0 offset:4864
	.loc	1 32 35                         ; matmul.py:32:35
	s_wait_dscnt 0x1
	v_fmac_f32_e32 v30, v139, v161
	v_fmac_f32_e32 v21, v131, v162
	;; [unrolled: 1-line block ×15, first 2 shown]
	s_wait_dscnt 0x0
	v_dual_fmac_f32 v9, v135, v163 :: v_dual_fmac_f32 v30, v140, v181
	v_fmac_f32_e32 v21, v132, v182
	v_fmac_f32_e32 v22, v140, v182
	;; [unrolled: 1-line block ×15, first 2 shown]
	.loc	1 31 20                         ; matmul.py:31:20
	ds_load_b128 v[129:132], v0 offset:5120
	ds_load_b128 v[133:136], v0 offset:5376
	.loc	1 32 35                         ; matmul.py:32:35
	v_fmac_f32_e32 v32, v155, v161
	v_fmac_f32_e32 v23, v147, v162
	;; [unrolled: 1-line block ×15, first 2 shown]
	v_dual_fmac_f32 v11, v151, v163 :: v_dual_fmac_f32 v32, v156, v181
	v_fmac_f32_e32 v23, v148, v182
	v_fmac_f32_e32 v24, v156, v182
	;; [unrolled: 1-line block ×14, first 2 shown]
	s_wait_dscnt 0x1
	v_dual_fmac_f32 v11, v152, v183 :: v_dual_fmac_f32 v30, v105, v129
	v_fmac_f32_e32 v21, v97, v130
	v_fmac_f32_e32 v22, v105, v130
	;; [unrolled: 1-line block ×30, first 2 shown]
	s_wait_dscnt 0x0
	v_dual_fmac_f32 v11, v117, v131 :: v_dual_fmac_f32 v30, v106, v133
	v_fmac_f32_e32 v21, v98, v134
	v_fmac_f32_e32 v22, v106, v134
	;; [unrolled: 1-line block ×31, first 2 shown]
	.loc	1 31 20                         ; matmul.py:31:20
	ds_load_b128 v[129:132], v0 offset:5632
	ds_load_b128 v[133:136], v0 offset:5888
	.loc	1 32 35                         ; matmul.py:32:35
	s_wait_dscnt 0x1
	v_fmac_f32_e32 v30, v107, v129
	v_fmac_f32_e32 v21, v99, v130
	v_fmac_f32_e32 v22, v107, v130
	v_fmac_f32_e32 v29, v99, v129
	v_fmac_f32_e32 v18, v107, v131
	v_fmac_f32_e32 v5, v99, v132
	v_fmac_f32_e32 v6, v107, v132
	v_fmac_f32_e32 v17, v99, v131
	v_fmac_f32_e32 v26, v111, v129
	v_fmac_f32_e32 v13, v103, v130
	v_fmac_f32_e32 v14, v111, v130
	v_fmac_f32_e32 v25, v103, v129
	v_fmac_f32_e32 v10, v111, v131
	v_fmac_f32_e32 v1, v103, v132
	v_fmac_f32_e32 v2, v111, v132
	s_wait_dscnt 0x0
	v_dual_fmac_f32 v9, v103, v131 :: v_dual_fmac_f32 v30, v108, v133
	v_fmac_f32_e32 v21, v100, v134
	v_fmac_f32_e32 v22, v108, v134
	;; [unrolled: 1-line block ×15, first 2 shown]
	.loc	1 31 20                         ; matmul.py:31:20
	ds_load_b128 v[97:100], v0 offset:6144
	ds_load_b128 v[101:104], v0 offset:6400
	.loc	1 32 35                         ; matmul.py:32:35
	v_fmac_f32_e32 v32, v123, v129
	v_fmac_f32_e32 v23, v115, v130
	;; [unrolled: 1-line block ×15, first 2 shown]
	v_dual_fmac_f32 v11, v119, v131 :: v_dual_fmac_f32 v32, v124, v133
	v_fmac_f32_e32 v23, v116, v134
	v_fmac_f32_e32 v24, v124, v134
	;; [unrolled: 1-line block ×14, first 2 shown]
	s_wait_dscnt 0x1
	v_dual_fmac_f32 v11, v120, v135 :: v_dual_fmac_f32 v30, v73, v97
	v_fmac_f32_e32 v21, v65, v98
	v_fmac_f32_e32 v22, v73, v98
	;; [unrolled: 1-line block ×30, first 2 shown]
	s_wait_dscnt 0x0
	v_dual_fmac_f32 v11, v85, v99 :: v_dual_fmac_f32 v30, v74, v101
	v_fmac_f32_e32 v21, v66, v102
	v_fmac_f32_e32 v22, v74, v102
	v_fmac_f32_e32 v29, v66, v101
	v_fmac_f32_e32 v18, v74, v103
	v_fmac_f32_e32 v5, v66, v104
	v_fmac_f32_e32 v6, v74, v104
	v_fmac_f32_e32 v17, v66, v103
	v_fmac_f32_e32 v26, v78, v101
	v_fmac_f32_e32 v13, v70, v102
	v_fmac_f32_e32 v14, v78, v102
	v_fmac_f32_e32 v25, v70, v101
	v_fmac_f32_e32 v10, v78, v103
	v_fmac_f32_e32 v1, v70, v104
	v_fmac_f32_e32 v2, v78, v104
	v_fmac_f32_e32 v9, v70, v103
	v_fmac_f32_e32 v32, v90, v101
	v_fmac_f32_e32 v23, v82, v102
	v_fmac_f32_e32 v24, v90, v102
	v_fmac_f32_e32 v31, v82, v101
	v_fmac_f32_e32 v20, v90, v103
	v_fmac_f32_e32 v7, v82, v104
	v_fmac_f32_e32 v8, v90, v104
	v_fmac_f32_e32 v19, v82, v103
	v_fmac_f32_e32 v28, v94, v101
	v_fmac_f32_e32 v15, v86, v102
	v_fmac_f32_e32 v16, v94, v102
	v_fmac_f32_e32 v27, v86, v101
	v_fmac_f32_e32 v12, v94, v103
	v_fmac_f32_e32 v3, v86, v104
	v_fmac_f32_e32 v4, v94, v104
	v_fmac_f32_e32 v11, v86, v103
	.loc	1 31 20                         ; matmul.py:31:20
	ds_load_b128 v[97:100], v0 offset:6656
	ds_load_b128 v[101:104], v0 offset:6912
	.loc	1 32 35                         ; matmul.py:32:35
	s_wait_dscnt 0x1
	v_fmac_f32_e32 v30, v75, v97
	v_fmac_f32_e32 v21, v67, v98
	;; [unrolled: 1-line block ×15, first 2 shown]
	s_wait_dscnt 0x0
	v_dual_fmac_f32 v9, v71, v99 :: v_dual_fmac_f32 v30, v76, v101
	v_fmac_f32_e32 v21, v68, v102
	v_fmac_f32_e32 v22, v76, v102
	;; [unrolled: 1-line block ×15, first 2 shown]
	.loc	1 31 20                         ; matmul.py:31:20
	ds_load_b128 v[65:68], v0 offset:7168
	ds_load_b128 v[69:72], v0 offset:7424
	.loc	1 32 35                         ; matmul.py:32:35
	v_fmac_f32_e32 v32, v91, v97
	v_fmac_f32_e32 v23, v83, v98
	;; [unrolled: 1-line block ×15, first 2 shown]
	v_dual_fmac_f32 v11, v87, v99 :: v_dual_fmac_f32 v32, v92, v101
	v_fmac_f32_e32 v23, v84, v102
	v_fmac_f32_e32 v24, v92, v102
	;; [unrolled: 1-line block ×14, first 2 shown]
	s_wait_dscnt 0x1
	v_dual_fmac_f32 v11, v88, v103 :: v_dual_fmac_f32 v30, v57, v65
	v_fmac_f32_e32 v21, v49, v66
	v_fmac_f32_e32 v22, v57, v66
	;; [unrolled: 1-line block ×30, first 2 shown]
	s_wait_dscnt 0x0
	v_dual_fmac_f32 v11, v37, v67 :: v_dual_fmac_f32 v30, v58, v69
	v_fmac_f32_e32 v21, v50, v70
	v_fmac_f32_e32 v22, v58, v70
	;; [unrolled: 1-line block ×31, first 2 shown]
	.loc	1 31 20                         ; matmul.py:31:20
	ds_load_b128 v[65:68], v0 offset:7680
	ds_load_b128 v[69:72], v0 offset:7936
	.loc	1 32 35                         ; matmul.py:32:35
	s_wait_dscnt 0x1
	v_fmac_f32_e32 v30, v59, v65
	v_fmac_f32_e32 v21, v51, v66
	;; [unrolled: 1-line block ×31, first 2 shown]
	s_wait_dscnt 0x0
	v_dual_fmac_f32 v11, v39, v67 :: v_dual_fmac_f32 v30, v60, v69
	v_fmac_f32_e32 v21, v52, v70
	v_fmac_f32_e32 v22, v60, v70
	;; [unrolled: 1-line block ×31, first 2 shown]
	.loc	1 30 20                         ; matmul.py:30:20
	s_wait_loadcnt 0x0
	s_barrier_signal -1
	s_barrier_wait -1
	global_inv scope:SCOPE_SE
	ds_store_2addr_stride64_b32 v254, v166, v165 offset1:2
	ds_store_2addr_stride64_b32 v254, v168, v167 offset0:4 offset1:6
	ds_store_2addr_stride64_b32 v254, v170, v169 offset0:8 offset1:10
	;; [unrolled: 1-line block ×3, first 2 shown]
	.loc	1 31 20                         ; matmul.py:31:20
	ds_store_2addr_stride64_b32 v254, v174, v173 offset0:16 offset1:18
	ds_store_2addr_stride64_b32 v254, v176, v175 offset0:20 offset1:22
	;; [unrolled: 1-line block ×4, first 2 shown]
	s_cbranch_scc0 .LBB0_94
.LBB0_62:                               ; =>This Inner Loop Header: Depth=1
	.loc	1 30 51                         ; matmul.py:30:51
	s_wait_alu depctr_sa_sdst(0)
	v_cmp_gt_i32_e32 vcc_lo, s6, v255
	v_dual_mov_b32 v165, 0 :: v_dual_mov_b32 v166, 0
	.loc	1 30 20 is_stmt 0               ; matmul.py:30:20
	s_and_saveexec_b32 s7, vcc_lo
	s_cbranch_execz .LBB0_64
; %bb.63:                               ;   in Loop: Header=BB0_62 Depth=1
	.loc	1 33 18 is_stmt 1               ; matmul.py:33:18
	s_wait_loadcnt 0x1
	v_add_co_u32 v33, s2, s8, v185
	s_wait_alu depctr_va_sdst(0)
	v_add_co_ci_u32_e64 v34, null, s9, v186, s2
	.loc	1 30 20                         ; matmul.py:30:20
	global_load_b32 v166, v[33:34], off
.LBB0_64:                               ;   in Loop: Header=BB0_62 Depth=1
	.loc	1 0 20 is_stmt 0                ; matmul.py:0:20
	s_wait_alu depctr_sa_sdst(0)
	s_or_b32 exec_lo, exec_lo, s7
	.loc	1 30 20                         ; matmul.py:30:20
	s_and_saveexec_b32 s7, vcc_lo
	s_cbranch_execz .LBB0_66
; %bb.65:                               ;   in Loop: Header=BB0_62 Depth=1
	.loc	1 33 18 is_stmt 1               ; matmul.py:33:18
	s_wait_loadcnt 0x0
	v_add_co_u32 v33, s2, s8, v187
	s_wait_alu depctr_va_sdst(0)
	v_add_co_ci_u32_e64 v34, null, s9, v188, s2
	.loc	1 30 20                         ; matmul.py:30:20
	global_load_b32 v165, v[33:34], off
.LBB0_66:                               ;   in Loop: Header=BB0_62 Depth=1
	.loc	1 0 20 is_stmt 0                ; matmul.py:0:20
	s_wait_alu depctr_sa_sdst(0)
	s_or_b32 exec_lo, exec_lo, s7
	v_dual_mov_b32 v167, 0 :: v_dual_mov_b32 v168, 0
	.loc	1 30 20                         ; matmul.py:30:20
	s_and_saveexec_b32 s7, vcc_lo
	s_cbranch_execz .LBB0_68
; %bb.67:                               ;   in Loop: Header=BB0_62 Depth=1
	.loc	1 33 18 is_stmt 1               ; matmul.py:33:18
	v_add_co_u32 v33, s2, s8, v225
	s_wait_alu depctr_va_sdst(0)
	v_add_co_ci_u32_e64 v34, null, s9, v226, s2
	.loc	1 30 20                         ; matmul.py:30:20
	global_load_b32 v168, v[33:34], off
.LBB0_68:                               ;   in Loop: Header=BB0_62 Depth=1
	.loc	1 0 20 is_stmt 0                ; matmul.py:0:20
	s_wait_alu depctr_sa_sdst(0)
	s_or_b32 exec_lo, exec_lo, s7
	.loc	1 30 20                         ; matmul.py:30:20
	s_and_saveexec_b32 s7, vcc_lo
	s_cbranch_execz .LBB0_70
; %bb.69:                               ;   in Loop: Header=BB0_62 Depth=1
	.loc	1 33 18 is_stmt 1               ; matmul.py:33:18
	v_add_co_u32 v33, s2, s8, v227
	s_wait_alu depctr_va_sdst(0)
	v_add_co_ci_u32_e64 v34, null, s9, v228, s2
	.loc	1 30 20                         ; matmul.py:30:20
	global_load_b32 v167, v[33:34], off
.LBB0_70:                               ;   in Loop: Header=BB0_62 Depth=1
	.loc	1 0 20 is_stmt 0                ; matmul.py:0:20
	s_wait_alu depctr_sa_sdst(0)
	s_or_b32 exec_lo, exec_lo, s7
	v_dual_mov_b32 v169, 0 :: v_dual_mov_b32 v170, 0
	.loc	1 30 20                         ; matmul.py:30:20
	s_and_saveexec_b32 s7, vcc_lo
	s_cbranch_execz .LBB0_72
; %bb.71:                               ;   in Loop: Header=BB0_62 Depth=1
	.loc	1 33 18 is_stmt 1               ; matmul.py:33:18
	v_add_co_u32 v33, s2, s8, v229
	s_wait_alu depctr_va_sdst(0)
	v_add_co_ci_u32_e64 v34, null, s9, v230, s2
	.loc	1 30 20                         ; matmul.py:30:20
	global_load_b32 v170, v[33:34], off
.LBB0_72:                               ;   in Loop: Header=BB0_62 Depth=1
	.loc	1 0 20 is_stmt 0                ; matmul.py:0:20
	s_wait_alu depctr_sa_sdst(0)
	s_or_b32 exec_lo, exec_lo, s7
	.loc	1 30 20                         ; matmul.py:30:20
	s_and_saveexec_b32 s7, vcc_lo
	s_cbranch_execz .LBB0_74
; %bb.73:                               ;   in Loop: Header=BB0_62 Depth=1
	.loc	1 33 18 is_stmt 1               ; matmul.py:33:18
	v_add_co_u32 v33, s2, s8, v231
	s_wait_alu depctr_va_sdst(0)
	v_add_co_ci_u32_e64 v34, null, s9, v232, s2
	.loc	1 30 20                         ; matmul.py:30:20
	global_load_b32 v169, v[33:34], off
.LBB0_74:                               ;   in Loop: Header=BB0_62 Depth=1
	.loc	1 0 20 is_stmt 0                ; matmul.py:0:20
	s_wait_alu depctr_sa_sdst(0)
	s_or_b32 exec_lo, exec_lo, s7
	v_dual_mov_b32 v171, 0 :: v_dual_mov_b32 v172, 0
	.loc	1 30 20                         ; matmul.py:30:20
	s_and_saveexec_b32 s7, vcc_lo
	s_cbranch_execz .LBB0_76
; %bb.75:                               ;   in Loop: Header=BB0_62 Depth=1
	.loc	1 33 18 is_stmt 1               ; matmul.py:33:18
	v_add_co_u32 v33, s2, s8, v233
	s_wait_alu depctr_va_sdst(0)
	v_add_co_ci_u32_e64 v34, null, s9, v234, s2
	.loc	1 30 20                         ; matmul.py:30:20
	global_load_b32 v172, v[33:34], off
.LBB0_76:                               ;   in Loop: Header=BB0_62 Depth=1
	.loc	1 0 20 is_stmt 0                ; matmul.py:0:20
	s_wait_alu depctr_sa_sdst(0)
	s_or_b32 exec_lo, exec_lo, s7
	.loc	1 30 20                         ; matmul.py:30:20
	s_and_saveexec_b32 s2, vcc_lo
	s_cbranch_execz .LBB0_78
; %bb.77:                               ;   in Loop: Header=BB0_62 Depth=1
	.loc	1 34 18 is_stmt 1               ; matmul.py:34:18
	v_add_co_u32 v33, vcc_lo, s8, v235
	s_wait_alu depctr_va_vcc(0)
	v_add_co_ci_u32_e64 v34, null, s9, v236, vcc_lo
	.loc	1 30 20                         ; matmul.py:30:20
	global_load_b32 v171, v[33:34], off
.LBB0_78:                               ;   in Loop: Header=BB0_62 Depth=1
	.loc	1 0 20 is_stmt 0                ; matmul.py:0:20
	s_wait_alu depctr_sa_sdst(0)
	s_or_b32 exec_lo, exec_lo, s2
	.loc	1 30 20                         ; matmul.py:30:20
	s_wait_loadcnt_dscnt 0x0
	s_barrier_signal -1
	v_dual_mov_b32 v173, 0 :: v_dual_mov_b32 v174, 0
	.loc	1 31 51 is_stmt 1               ; matmul.py:31:51
	s_cmp_ge_i32 s25, s6
	.loc	1 30 20                         ; matmul.py:30:20
	s_barrier_wait -1
	global_inv scope:SCOPE_SE
	ds_load_b128 v[129:132], v253
	ds_load_b128 v[97:100], v253 offset:16
	ds_load_b128 v[65:68], v253 offset:32
	ds_load_b128 v[49:52], v253 offset:48
	ds_load_b128 v[133:136], v253 offset:64
	ds_load_b128 v[101:104], v253 offset:80
	ds_load_b128 v[69:72], v253 offset:96
	ds_load_b128 v[53:56], v253 offset:112
	ds_load_b128 v[137:140], v253 offset:128
	ds_load_b128 v[105:108], v253 offset:144
	ds_load_b128 v[73:76], v253 offset:160
	ds_load_b128 v[57:60], v253 offset:176
	ds_load_b128 v[141:144], v253 offset:192
	ds_load_b128 v[109:112], v253 offset:208
	ds_load_b128 v[77:80], v253 offset:224
	ds_load_b128 v[61:64], v253 offset:240
	ds_load_b128 v[145:148], v253 offset:2048
	ds_load_b128 v[113:116], v253 offset:2064
	ds_load_b128 v[81:84], v253 offset:2080
	ds_load_b128 v[33:36], v253 offset:2096
	ds_load_b128 v[149:152], v253 offset:2112
	ds_load_b128 v[117:120], v253 offset:2128
	ds_load_b128 v[85:88], v253 offset:2144
	ds_load_b128 v[37:40], v253 offset:2160
	ds_load_b128 v[153:156], v253 offset:2176
	ds_load_b128 v[121:124], v253 offset:2192
	ds_load_b128 v[89:92], v253 offset:2208
	ds_load_b128 v[41:44], v253 offset:2224
	ds_load_b128 v[157:160], v253 offset:2240
	ds_load_b128 v[125:128], v253 offset:2256
	ds_load_b128 v[93:96], v253 offset:2272
	ds_load_b128 v[45:48], v253 offset:2288
	s_cbranch_scc0 .LBB0_86
; %bb.79:                               ;   in Loop: Header=BB0_62 Depth=1
	.loc	1 31 51                         ; matmul.py:31:51
	s_cmp_ge_i32 s18, s6
	s_cbranch_scc0 .LBB0_87
.LBB0_80:                               ;   in Loop: Header=BB0_62 Depth=1
	.loc	1 0 51 is_stmt 0                ; matmul.py:0:51
	v_dual_mov_b32 v175, 0 :: v_dual_mov_b32 v176, 0
	.loc	1 31 51                         ; matmul.py:31:51
	s_cmp_ge_i32 s19, s6
	s_cbranch_scc0 .LBB0_88
.LBB0_81:                               ;   in Loop: Header=BB0_62 Depth=1
	s_cmp_ge_i32 s20, s6
	s_cbranch_scc0 .LBB0_89
.LBB0_82:                               ;   in Loop: Header=BB0_62 Depth=1
	.loc	1 0 51                          ; matmul.py:0:51
	v_dual_mov_b32 v177, 0 :: v_dual_mov_b32 v178, 0
	.loc	1 31 51                         ; matmul.py:31:51
	s_cmp_ge_i32 s21, s6
	s_cbranch_scc0 .LBB0_90
.LBB0_83:                               ;   in Loop: Header=BB0_62 Depth=1
	s_cmp_ge_i32 s22, s6
	s_cbranch_scc0 .LBB0_91
.LBB0_84:                               ;   in Loop: Header=BB0_62 Depth=1
	.loc	1 0 51                          ; matmul.py:0:51
	v_dual_mov_b32 v179, 0 :: v_dual_mov_b32 v180, 0
	.loc	1 31 51                         ; matmul.py:31:51
	s_cmp_ge_i32 s23, s6
	s_cbranch_scc0 .LBB0_92
.LBB0_85:                               ;   in Loop: Header=BB0_62 Depth=1
	s_cmp_ge_i32 s24, s6
	s_cbranch_scc1 .LBB0_61
	s_branch .LBB0_93
.LBB0_86:                               ;   in Loop: Header=BB0_62 Depth=1
	.loc	1 34 18 is_stmt 1               ; matmul.py:34:18
	v_add_co_u32 v161, vcc_lo, s10, v237
	s_wait_alu depctr_va_vcc(0)
	v_add_co_ci_u32_e64 v162, null, s11, v238, vcc_lo
	.loc	1 31 20                         ; matmul.py:31:20
	global_load_b32 v174, v[161:162], off
	.loc	1 31 51 is_stmt 0               ; matmul.py:31:51
	s_cmp_ge_i32 s18, s6
	s_cbranch_scc1 .LBB0_80
.LBB0_87:                               ;   in Loop: Header=BB0_62 Depth=1
	.loc	1 34 18 is_stmt 1               ; matmul.py:34:18
	v_add_co_u32 v161, vcc_lo, s10, v239
	s_wait_alu depctr_va_vcc(0)
	v_add_co_ci_u32_e64 v162, null, s11, v240, vcc_lo
	.loc	1 31 20                         ; matmul.py:31:20
	global_load_b32 v173, v[161:162], off
	v_dual_mov_b32 v175, 0 :: v_dual_mov_b32 v176, 0
	.loc	1 31 51 is_stmt 0               ; matmul.py:31:51
	s_cmp_ge_i32 s19, s6
	s_cbranch_scc1 .LBB0_81
.LBB0_88:                               ;   in Loop: Header=BB0_62 Depth=1
	.loc	1 34 18 is_stmt 1               ; matmul.py:34:18
	v_add_co_u32 v161, vcc_lo, s10, v241
	s_wait_alu depctr_va_vcc(0)
	v_add_co_ci_u32_e64 v162, null, s11, v242, vcc_lo
	.loc	1 31 20                         ; matmul.py:31:20
	global_load_b32 v176, v[161:162], off
	.loc	1 31 51 is_stmt 0               ; matmul.py:31:51
	s_cmp_ge_i32 s20, s6
	s_cbranch_scc1 .LBB0_82
.LBB0_89:                               ;   in Loop: Header=BB0_62 Depth=1
	.loc	1 34 18 is_stmt 1               ; matmul.py:34:18
	v_add_co_u32 v161, vcc_lo, s10, v243
	s_wait_alu depctr_va_vcc(0)
	v_add_co_ci_u32_e64 v162, null, s11, v244, vcc_lo
	.loc	1 31 20                         ; matmul.py:31:20
	global_load_b32 v175, v[161:162], off
	v_dual_mov_b32 v177, 0 :: v_dual_mov_b32 v178, 0
	.loc	1 31 51 is_stmt 0               ; matmul.py:31:51
	s_cmp_ge_i32 s21, s6
	s_cbranch_scc1 .LBB0_83
.LBB0_90:                               ;   in Loop: Header=BB0_62 Depth=1
	.loc	1 34 18 is_stmt 1               ; matmul.py:34:18
	v_add_co_u32 v161, vcc_lo, s10, v245
	s_wait_alu depctr_va_vcc(0)
	v_add_co_ci_u32_e64 v162, null, s11, v246, vcc_lo
	.loc	1 31 20                         ; matmul.py:31:20
	global_load_b32 v178, v[161:162], off
	.loc	1 31 51 is_stmt 0               ; matmul.py:31:51
	s_cmp_ge_i32 s22, s6
	s_cbranch_scc1 .LBB0_84
.LBB0_91:                               ;   in Loop: Header=BB0_62 Depth=1
	.loc	1 34 18 is_stmt 1               ; matmul.py:34:18
	v_add_co_u32 v161, vcc_lo, s10, v247
	s_wait_alu depctr_va_vcc(0)
	v_add_co_ci_u32_e64 v162, null, s11, v248, vcc_lo
	.loc	1 31 20                         ; matmul.py:31:20
	global_load_b32 v177, v[161:162], off
	v_dual_mov_b32 v179, 0 :: v_dual_mov_b32 v180, 0
	.loc	1 31 51 is_stmt 0               ; matmul.py:31:51
	s_cmp_ge_i32 s23, s6
	s_cbranch_scc1 .LBB0_85
.LBB0_92:                               ;   in Loop: Header=BB0_62 Depth=1
	.loc	1 34 18 is_stmt 1               ; matmul.py:34:18
	v_add_co_u32 v161, vcc_lo, s10, v249
	s_wait_alu depctr_va_vcc(0)
	v_add_co_ci_u32_e64 v162, null, s11, v250, vcc_lo
	.loc	1 31 20                         ; matmul.py:31:20
	global_load_b32 v180, v[161:162], off
	.loc	1 31 51 is_stmt 0               ; matmul.py:31:51
	s_cmp_ge_i32 s24, s6
	s_cbranch_scc1 .LBB0_61
.LBB0_93:                               ;   in Loop: Header=BB0_62 Depth=1
	.loc	1 29 22 is_stmt 1               ; matmul.py:29:22
	v_add_co_u32 v161, vcc_lo, s10, v251
	s_wait_alu depctr_va_vcc(0)
	v_add_co_ci_u32_e64 v162, null, s11, v252, vcc_lo
	.loc	1 31 20                         ; matmul.py:31:20
	global_load_b32 v179, v[161:162], off
	s_branch .LBB0_61
.LBB0_94:                               ; %Flow274
	.loc	1 0 20 is_stmt 0                ; matmul.py:0:20
	scratch_load_b32 v181, off, off offset:12 ; 4-byte Folded Reload
.LBB0_95:                               ; %Flow275
	s_clause 0x1
	s_load_b64 s[2:3], s[0:1], 0x10
	s_load_b64 s[6:7], s[0:1], 0x34
	.loc	1 30 20 is_stmt 1               ; matmul.py:30:20
	s_wait_storecnt 0x0
	s_wait_loadcnt_dscnt 0x0
	s_barrier_signal -1
	s_and_b32 s0, s17, 2
	.loc	1 32 35                         ; matmul.py:32:35
	s_and_not1_b32 vcc_lo, exec_lo, s26
	.loc	1 30 20                         ; matmul.py:30:20
	s_barrier_wait -1
	global_inv scope:SCOPE_SE
	.loc	1 32 35                         ; matmul.py:32:35
	s_wait_alu depctr_sa_sdst(0)
	s_cbranch_vccnz .LBB0_97
; %bb.96:
	.loc	1 30 20                         ; matmul.py:30:20
	v_lshl_add_u32 v0, v181, 4, 0
	.loc	1 31 20                         ; matmul.py:31:20
	v_lshl_add_u32 v65, v255, 4, 0
	.loc	1 30 20                         ; matmul.py:30:20
	ds_load_b128 v[205:208], v0 offset:144
	ds_load_b128 v[209:212], v0 offset:128
	;; [unrolled: 1-line block ×3, first 2 shown]
	ds_load_b128 v[177:180], v0
	.loc	1 31 20                         ; matmul.py:31:20
	ds_load_b128 v[97:100], v65 offset:4096
	ds_load_b128 v[93:96], v65 offset:4352
	;; [unrolled: 1-line block ×14, first 2 shown]
	.loc	1 30 20                         ; matmul.py:30:20
	ds_load_b128 v[181:184], v0 offset:16
	ds_load_b128 v[161:164], v0 offset:240
	;; [unrolled: 1-line block ×5, first 2 shown]
	.loc	1 31 20                         ; matmul.py:31:20
	ds_load_b128 v[109:112], v65 offset:5376
	ds_load_b128 v[113:116], v65 offset:5120
	.loc	1 30 20                         ; matmul.py:30:20
	ds_load_b128 v[65:68], v0 offset:2288
	ds_load_b128 v[85:88], v0 offset:2272
	;; [unrolled: 1-line block ×23, first 2 shown]
	.loc	1 32 35                         ; matmul.py:32:35
	s_wait_dscnt 0x2b
	v_fmac_f32_e32 v30, v209, v97
	v_fmac_f32_e32 v21, v177, v98
	;; [unrolled: 1-line block ×5, first 2 shown]
	s_wait_dscnt 0x2a
	v_fmac_f32_e32 v30, v210, v93
	v_fmac_f32_e32 v21, v178, v94
	;; [unrolled: 1-line block ×4, first 2 shown]
	v_dual_fmac_f32 v29, v178, v93 :: v_dual_fmac_f32 v18, v209, v99
	s_wait_dscnt 0x24
	v_fmac_f32_e32 v21, v179, v90
	v_fmac_f32_e32 v30, v211, v89
	;; [unrolled: 1-line block ×3, first 2 shown]
	v_dual_fmac_f32 v29, v179, v89 :: v_dual_fmac_f32 v18, v210, v95
	s_delay_alu instid0(VALU_DEP_4) | instskip(NEXT) | instid1(VALU_DEP_4)
	v_fmac_f32_e32 v21, v180, v82
	v_fmac_f32_e32 v30, v212, v81
	s_delay_alu instid0(VALU_DEP_4) | instskip(NEXT) | instid1(VALU_DEP_4)
	v_fmac_f32_e32 v6, v212, v84
	v_dual_fmac_f32 v29, v180, v81 :: v_dual_fmac_f32 v22, v211, v90
	s_wait_dscnt 0x17
	v_fmac_f32_e32 v21, v181, v114
	v_fmac_f32_e32 v30, v205, v113
	;; [unrolled: 1-line block ×4, first 2 shown]
	v_dual_fmac_f32 v29, v181, v113 :: v_dual_fmac_f32 v18, v211, v91
	v_fmac_f32_e32 v21, v182, v110
	v_fmac_f32_e32 v30, v206, v109
	;; [unrolled: 1-line block ×6, first 2 shown]
	v_dual_fmac_f32 v30, v207, v77 :: v_dual_fmac_f32 v9, v193, v99
	s_delay_alu instid0(VALU_DEP_3) | instskip(NEXT) | instid1(VALU_DEP_3)
	v_dual_fmac_f32 v6, v207, v80 :: v_dual_fmac_f32 v13, v194, v94
	v_fmac_f32_e32 v21, v184, v70
	s_delay_alu instid0(VALU_DEP_3) | instskip(SKIP_2) | instid1(VALU_DEP_3)
	v_fmac_f32_e32 v30, v208, v69
	v_dual_fmac_f32 v29, v182, v109 :: v_dual_fmac_f32 v22, v212, v82
	s_wait_dscnt 0x14
	v_dual_fmac_f32 v6, v208, v72 :: v_dual_fmac_f32 v21, v185, v62
	s_wait_dscnt 0xe
	v_dual_fmac_f32 v30, v201, v61 :: v_dual_fmac_f32 v9, v194, v95
	v_dual_fmac_f32 v29, v183, v77 :: v_dual_fmac_f32 v18, v212, v83
	s_delay_alu instid0(VALU_DEP_3) | instskip(NEXT) | instid1(VALU_DEP_3)
	v_dual_fmac_f32 v21, v186, v58 :: v_dual_fmac_f32 v6, v201, v64
	v_dual_fmac_f32 v30, v202, v57 :: v_dual_fmac_f32 v17, v179, v91
	s_delay_alu instid0(VALU_DEP_3) | instskip(NEXT) | instid1(VALU_DEP_3)
	v_dual_fmac_f32 v29, v184, v69 :: v_dual_fmac_f32 v22, v205, v114
	v_dual_fmac_f32 v21, v187, v54 :: v_dual_fmac_f32 v6, v202, v60
	s_delay_alu instid0(VALU_DEP_3) | instskip(SKIP_2) | instid1(VALU_DEP_4)
	v_fmac_f32_e32 v30, v203, v53
	v_fmac_f32_e32 v13, v195, v90
	;; [unrolled: 1-line block ×3, first 2 shown]
	v_dual_fmac_f32 v21, v188, v50 :: v_dual_fmac_f32 v6, v203, v56
	s_delay_alu instid0(VALU_DEP_4) | instskip(NEXT) | instid1(VALU_DEP_4)
	v_fmac_f32_e32 v30, v204, v49
	v_fmac_f32_e32 v13, v196, v82
	v_dual_fmac_f32 v29, v185, v61 :: v_dual_fmac_f32 v22, v206, v110
	v_fmac_f32_e32 v25, v193, v97
	v_dual_fmac_f32 v21, v213, v46 :: v_dual_fmac_f32 v6, v204, v52
	v_fmac_f32_e32 v30, v197, v45
	s_delay_alu instid0(VALU_DEP_4) | instskip(SKIP_1) | instid1(VALU_DEP_4)
	v_dual_fmac_f32 v29, v186, v57 :: v_dual_fmac_f32 v18, v205, v115
	v_dual_fmac_f32 v5, v177, v100 :: v_dual_fmac_f32 v22, v207, v78
	;; [unrolled: 1-line block ×3, first 2 shown]
	s_delay_alu instid0(VALU_DEP_3) | instskip(NEXT) | instid1(VALU_DEP_3)
	v_dual_fmac_f32 v18, v206, v111 :: v_dual_fmac_f32 v29, v187, v53
	v_dual_fmac_f32 v22, v208, v70 :: v_dual_fmac_f32 v5, v178, v96
	s_delay_alu instid0(VALU_DEP_3) | instskip(NEXT) | instid1(VALU_DEP_3)
	v_fmac_f32_e32 v21, v215, v38
	v_dual_fmac_f32 v18, v207, v79 :: v_dual_fmac_f32 v29, v188, v49
	s_delay_alu instid0(VALU_DEP_3) | instskip(NEXT) | instid1(VALU_DEP_3)
	v_dual_fmac_f32 v22, v201, v62 :: v_dual_fmac_f32 v25, v194, v93
	v_fmac_f32_e32 v21, v216, v34
	s_delay_alu instid0(VALU_DEP_3) | instskip(NEXT) | instid1(VALU_DEP_3)
	v_dual_fmac_f32 v18, v208, v71 :: v_dual_fmac_f32 v29, v213, v45
	v_dual_fmac_f32 v22, v202, v58 :: v_dual_fmac_f32 v5, v179, v92
	v_fmac_f32_e32 v30, v198, v41
	s_delay_alu instid0(VALU_DEP_3) | instskip(NEXT) | instid1(VALU_DEP_3)
	v_dual_fmac_f32 v18, v201, v63 :: v_dual_fmac_f32 v25, v195, v89
	v_dual_fmac_f32 v29, v214, v41 :: v_dual_fmac_f32 v22, v203, v54
	v_fmac_f32_e32 v9, v195, v91
	s_delay_alu instid0(VALU_DEP_3) | instskip(SKIP_1) | instid1(VALU_DEP_4)
	v_dual_fmac_f32 v18, v202, v59 :: v_dual_fmac_f32 v5, v180, v84
	v_dual_fmac_f32 v13, v189, v114 :: v_dual_fmac_f32 v30, v199, v37
	v_fmac_f32_e32 v22, v204, v50
	s_delay_alu instid0(VALU_DEP_3) | instskip(SKIP_2) | instid1(VALU_DEP_4)
	v_fmac_f32_e32 v18, v203, v55
	v_fmac_f32_e32 v29, v215, v37
	;; [unrolled: 1-line block ×3, first 2 shown]
	v_dual_fmac_f32 v9, v196, v83 :: v_dual_fmac_f32 v22, v197, v46
	v_fmac_f32_e32 v17, v181, v115
	v_dual_fmac_f32 v13, v190, v110 :: v_dual_fmac_f32 v30, v200, v33
	v_fmac_f32_e32 v18, v204, v51
	v_fmac_f32_e32 v29, v216, v33
	v_dual_fmac_f32 v25, v189, v113 :: v_dual_fmac_f32 v6, v198, v44
	v_dual_fmac_f32 v22, v198, v42 :: v_dual_fmac_f32 v9, v189, v115
	v_fmac_f32_e32 v17, v182, v111
	v_dual_fmac_f32 v13, v191, v78 :: v_dual_fmac_f32 v10, v173, v99
	s_delay_alu instid0(VALU_DEP_4) | instskip(SKIP_3) | instid1(VALU_DEP_4)
	v_fmac_f32_e32 v6, v199, v40
	v_fmac_f32_e32 v18, v197, v47
	v_dual_fmac_f32 v5, v181, v116 :: v_dual_fmac_f32 v22, v199, v38
	v_fmac_f32_e32 v25, v190, v109
	v_dual_fmac_f32 v9, v190, v111 :: v_dual_fmac_f32 v6, v200, v36
	v_dual_fmac_f32 v17, v183, v79 :: v_dual_fmac_f32 v26, v173, v97
	v_fmac_f32_e32 v18, v198, v43
	v_dual_fmac_f32 v5, v182, v112 :: v_dual_fmac_f32 v22, v200, v34
	v_dual_fmac_f32 v25, v191, v77 :: v_dual_fmac_f32 v14, v173, v98
	;; [unrolled: 1-line block ×5, first 2 shown]
	v_fmac_f32_e32 v5, v183, v80
	v_dual_fmac_f32 v25, v192, v69 :: v_dual_fmac_f32 v10, v174, v95
	s_delay_alu instid0(VALU_DEP_4)
	v_dual_fmac_f32 v9, v192, v71 :: v_dual_fmac_f32 v26, v175, v89
	s_wait_dscnt 0xc
	v_dual_fmac_f32 v2, v174, v96 :: v_dual_fmac_f32 v13, v221, v62
	v_fmac_f32_e32 v18, v200, v35
	v_dual_fmac_f32 v5, v184, v72 :: v_dual_fmac_f32 v14, v174, v94
	v_fmac_f32_e32 v17, v185, v63
	s_delay_alu instid0(VALU_DEP_4) | instskip(SKIP_1) | instid1(VALU_DEP_4)
	v_dual_fmac_f32 v25, v221, v61 :: v_dual_fmac_f32 v2, v175, v92
	v_dual_fmac_f32 v26, v176, v81 :: v_dual_fmac_f32 v13, v222, v58
	;; [unrolled: 1-line block ×4, first 2 shown]
	s_delay_alu instid0(VALU_DEP_4) | instskip(NEXT) | instid1(VALU_DEP_3)
	v_dual_fmac_f32 v17, v186, v59 :: v_dual_fmac_f32 v2, v176, v84
	v_dual_fmac_f32 v26, v169, v113 :: v_dual_fmac_f32 v5, v186, v60
	s_delay_alu instid0(VALU_DEP_4) | instskip(NEXT) | instid1(VALU_DEP_4)
	v_fmac_f32_e32 v10, v176, v83
	v_dual_fmac_f32 v14, v176, v82 :: v_dual_fmac_f32 v25, v222, v57
	s_delay_alu instid0(VALU_DEP_3) | instskip(SKIP_1) | instid1(VALU_DEP_4)
	v_dual_fmac_f32 v17, v187, v55 :: v_dual_fmac_f32 v26, v170, v109
	v_dual_fmac_f32 v9, v222, v59 :: v_dual_fmac_f32 v2, v169, v116
	v_dual_fmac_f32 v5, v187, v56 :: v_dual_fmac_f32 v10, v169, v115
	v_fmac_f32_e32 v13, v223, v54
	v_dual_fmac_f32 v14, v169, v114 :: v_dual_fmac_f32 v25, v223, v53
	v_dual_fmac_f32 v17, v188, v51 :: v_dual_fmac_f32 v26, v171, v77
	s_delay_alu instid0(VALU_DEP_4) | instskip(NEXT) | instid1(VALU_DEP_3)
	v_fmac_f32_e32 v10, v170, v111
	v_dual_fmac_f32 v14, v170, v110 :: v_dual_fmac_f32 v5, v188, v52
	s_delay_alu instid0(VALU_DEP_4) | instskip(SKIP_1) | instid1(VALU_DEP_4)
	v_fmac_f32_e32 v25, v224, v49
	v_dual_fmac_f32 v9, v223, v55 :: v_dual_fmac_f32 v2, v170, v112
	v_fmac_f32_e32 v10, v171, v79
	s_delay_alu instid0(VALU_DEP_4) | instskip(NEXT) | instid1(VALU_DEP_4)
	v_dual_fmac_f32 v14, v171, v78 :: v_dual_fmac_f32 v5, v213, v48
	v_fmac_f32_e32 v25, v217, v45
	v_dual_fmac_f32 v17, v213, v47 :: v_dual_fmac_f32 v26, v172, v69
	s_delay_alu instid0(VALU_DEP_4) | instskip(NEXT) | instid1(VALU_DEP_4)
	v_fmac_f32_e32 v10, v172, v71
	v_dual_fmac_f32 v14, v172, v70 :: v_dual_fmac_f32 v5, v214, v44
	v_dual_fmac_f32 v13, v224, v50 :: v_dual_fmac_f32 v2, v171, v80
	s_delay_alu instid0(VALU_DEP_3) | instskip(SKIP_1) | instid1(VALU_DEP_4)
	v_fmac_f32_e32 v10, v165, v63
	v_dual_fmac_f32 v9, v224, v51 :: v_dual_fmac_f32 v26, v165, v61
	v_fmac_f32_e32 v5, v215, v40
	s_delay_alu instid0(VALU_DEP_4) | instskip(NEXT) | instid1(VALU_DEP_4)
	v_dual_fmac_f32 v13, v217, v46 :: v_dual_fmac_f32 v2, v172, v72
	v_fmac_f32_e32 v10, v166, v59
	s_delay_alu instid0(VALU_DEP_4) | instskip(SKIP_1) | instid1(VALU_DEP_3)
	v_dual_fmac_f32 v9, v217, v47 :: v_dual_fmac_f32 v26, v166, v57
	v_dual_fmac_f32 v17, v214, v43 :: v_dual_fmac_f32 v14, v165, v62
	;; [unrolled: 1-line block ×3, first 2 shown]
	v_fmac_f32_e32 v1, v193, v100
	s_delay_alu instid0(VALU_DEP_4) | instskip(NEXT) | instid1(VALU_DEP_4)
	v_dual_fmac_f32 v13, v218, v42 :: v_dual_fmac_f32 v26, v167, v53
	v_dual_fmac_f32 v17, v215, v39 :: v_dual_fmac_f32 v14, v166, v58
	s_delay_alu instid0(VALU_DEP_3) | instskip(SKIP_1) | instid1(VALU_DEP_3)
	v_dual_fmac_f32 v10, v168, v51 :: v_dual_fmac_f32 v1, v194, v96
	v_dual_fmac_f32 v25, v218, v41 :: v_dual_fmac_f32 v2, v165, v64
	;; [unrolled: 1-line block ×4, first 2 shown]
	s_delay_alu instid0(VALU_DEP_4) | instskip(NEXT) | instid1(VALU_DEP_4)
	v_dual_fmac_f32 v1, v195, v92 :: v_dual_fmac_f32 v10, v161, v47
	v_dual_fmac_f32 v25, v219, v37 :: v_dual_fmac_f32 v2, v166, v60
	s_delay_alu instid0(VALU_DEP_4) | instskip(NEXT) | instid1(VALU_DEP_4)
	v_dual_fmac_f32 v9, v219, v39 :: v_dual_fmac_f32 v14, v168, v50
	v_dual_fmac_f32 v13, v220, v34 :: v_dual_fmac_f32 v26, v161, v45
	s_delay_alu instid0(VALU_DEP_4) | instskip(NEXT) | instid1(VALU_DEP_3)
	v_fmac_f32_e32 v1, v196, v84
	v_dual_fmac_f32 v25, v220, v33 :: v_dual_fmac_f32 v14, v161, v46
	v_fmac_f32_e32 v10, v162, v43
	s_delay_alu instid0(VALU_DEP_3) | instskip(SKIP_1) | instid1(VALU_DEP_4)
	v_dual_fmac_f32 v26, v162, v41 :: v_dual_fmac_f32 v1, v189, v116
	v_dual_fmac_f32 v17, v216, v35 :: v_dual_fmac_f32 v2, v167, v56
	v_fmac_f32_e32 v14, v162, v42
	s_delay_alu instid0(VALU_DEP_3) | instskip(NEXT) | instid1(VALU_DEP_3)
	v_dual_fmac_f32 v26, v163, v37 :: v_dual_fmac_f32 v1, v190, v112
	v_dual_fmac_f32 v31, v157, v97 :: v_dual_fmac_f32 v2, v168, v52
	s_delay_alu instid0(VALU_DEP_3) | instskip(SKIP_1) | instid1(VALU_DEP_4)
	v_fmac_f32_e32 v14, v163, v38
	v_fmac_f32_e32 v10, v163, v39
	;; [unrolled: 1-line block ×3, first 2 shown]
	s_delay_alu instid0(VALU_DEP_4)
	v_dual_fmac_f32 v9, v220, v35 :: v_dual_fmac_f32 v2, v161, v48
	v_fmac_f32_e32 v26, v164, v33
	v_fmac_f32_e32 v14, v164, v34
	s_wait_dscnt 0xa
	v_dual_fmac_f32 v1, v192, v72 :: v_dual_fmac_f32 v32, v125, v97
	v_fmac_f32_e32 v2, v162, v44
	v_dual_fmac_f32 v31, v158, v93 :: v_dual_fmac_f32 v10, v164, v35
	s_delay_alu instid0(VALU_DEP_3) | instskip(SKIP_1) | instid1(VALU_DEP_4)
	v_fmac_f32_e32 v1, v221, v64
	v_fmac_f32_e32 v24, v125, v98
	;; [unrolled: 1-line block ×3, first 2 shown]
	s_delay_alu instid0(VALU_DEP_4) | instskip(NEXT) | instid1(VALU_DEP_4)
	v_dual_fmac_f32 v31, v159, v89 :: v_dual_fmac_f32 v20, v125, v99
	v_fmac_f32_e32 v1, v222, v60
	s_delay_alu instid0(VALU_DEP_4) | instskip(NEXT) | instid1(VALU_DEP_4)
	v_fmac_f32_e32 v24, v126, v94
	v_fmac_f32_e32 v2, v164, v36
	s_delay_alu instid0(VALU_DEP_4) | instskip(NEXT) | instid1(VALU_DEP_4)
	v_dual_fmac_f32 v31, v160, v81 :: v_dual_fmac_f32 v20, v126, v95
	v_fmac_f32_e32 v1, v223, v56
	s_delay_alu instid0(VALU_DEP_4) | instskip(SKIP_1) | instid1(VALU_DEP_4)
	v_fmac_f32_e32 v24, v127, v90
	v_fmac_f32_e32 v32, v126, v93
	;; [unrolled: 1-line block ×9, first 2 shown]
	v_dual_fmac_f32 v1, v217, v48 :: v_dual_fmac_f32 v20, v127, v91
	s_delay_alu instid0(VALU_DEP_4) | instskip(NEXT) | instid1(VALU_DEP_4)
	v_fmac_f32_e32 v32, v128, v81
	v_fmac_f32_e32 v31, v155, v77
	;; [unrolled: 1-line block ×3, first 2 shown]
	s_delay_alu instid0(VALU_DEP_4) | instskip(NEXT) | instid1(VALU_DEP_4)
	v_dual_fmac_f32 v1, v218, v44 :: v_dual_fmac_f32 v20, v128, v83
	v_fmac_f32_e32 v32, v117, v113
	s_delay_alu instid0(VALU_DEP_4) | instskip(SKIP_1) | instid1(VALU_DEP_4)
	v_fmac_f32_e32 v31, v156, v69
	v_fmac_f32_e32 v7, v157, v100
	v_dual_fmac_f32 v1, v219, v40 :: v_dual_fmac_f32 v24, v117, v114
	s_delay_alu instid0(VALU_DEP_4)
	v_fmac_f32_e32 v32, v118, v109
	s_wait_dscnt 0x4
	v_fmac_f32_e32 v31, v149, v61
	v_fmac_f32_e32 v15, v141, v98
	v_dual_fmac_f32 v1, v220, v36 :: v_dual_fmac_f32 v20, v117, v115
	v_fmac_f32_e32 v32, v119, v77
	s_delay_alu instid0(VALU_DEP_4)
	v_fmac_f32_e32 v31, v150, v57
	v_fmac_f32_e32 v19, v158, v95
	;; [unrolled: 1-line block ×7, first 2 shown]
	v_dual_fmac_f32 v24, v119, v78 :: v_dual_fmac_f32 v27, v141, v97
	s_wait_dscnt 0x0
	v_fmac_f32_e32 v32, v101, v61
	v_fmac_f32_e32 v31, v152, v49
	s_delay_alu instid0(VALU_DEP_3) | instskip(SKIP_1) | instid1(VALU_DEP_4)
	v_dual_fmac_f32 v19, v159, v91 :: v_dual_fmac_f32 v24, v120, v70
	v_fmac_f32_e32 v27, v142, v93
	v_fmac_f32_e32 v32, v102, v57
	s_delay_alu instid0(VALU_DEP_4) | instskip(NEXT) | instid1(VALU_DEP_4)
	v_dual_fmac_f32 v31, v145, v45 :: v_dual_fmac_f32 v20, v119, v79
	v_dual_fmac_f32 v7, v158, v96 :: v_dual_fmac_f32 v24, v101, v62
	s_delay_alu instid0(VALU_DEP_3) | instskip(NEXT) | instid1(VALU_DEP_3)
	v_fmac_f32_e32 v32, v103, v53
	v_dual_fmac_f32 v31, v146, v41 :: v_dual_fmac_f32 v20, v120, v71
	v_fmac_f32_e32 v23, v159, v90
	s_delay_alu instid0(VALU_DEP_4) | instskip(NEXT) | instid1(VALU_DEP_3)
	v_dual_fmac_f32 v7, v159, v92 :: v_dual_fmac_f32 v24, v102, v58
	v_dual_fmac_f32 v31, v147, v37 :: v_dual_fmac_f32 v20, v101, v63
	v_fmac_f32_e32 v27, v143, v89
	s_delay_alu instid0(VALU_DEP_4) | instskip(NEXT) | instid1(VALU_DEP_4)
	v_fmac_f32_e32 v23, v160, v82
	v_dual_fmac_f32 v19, v160, v83 :: v_dual_fmac_f32 v24, v103, v54
	s_delay_alu instid0(VALU_DEP_4) | instskip(SKIP_2) | instid1(VALU_DEP_4)
	v_fmac_f32_e32 v31, v148, v33
	v_dual_fmac_f32 v15, v143, v90 :: v_dual_fmac_f32 v32, v104, v49
	v_dual_fmac_f32 v20, v102, v59 :: v_dual_fmac_f32 v7, v160, v84
	;; [unrolled: 1-line block ×3, first 2 shown]
	v_fmac_f32_e32 v27, v144, v81
	s_delay_alu instid0(VALU_DEP_4) | instskip(NEXT) | instid1(VALU_DEP_4)
	v_dual_fmac_f32 v15, v144, v82 :: v_dual_fmac_f32 v32, v73, v45
	v_dual_fmac_f32 v20, v103, v55 :: v_dual_fmac_f32 v23, v153, v114
	v_fmac_f32_e32 v7, v153, v116
	v_fmac_f32_e32 v24, v73, v46
	s_delay_alu instid0(VALU_DEP_3) | instskip(NEXT) | instid1(VALU_DEP_4)
	v_dual_fmac_f32 v27, v137, v113 :: v_dual_fmac_f32 v20, v104, v51
	v_fmac_f32_e32 v23, v154, v110
	v_fmac_f32_e32 v32, v74, v41
	v_fmac_f32_e32 v19, v154, v111
	v_fmac_f32_e32 v24, v74, v42
	v_dual_fmac_f32 v7, v154, v112 :: v_dual_fmac_f32 v20, v73, v47
	s_delay_alu instid0(VALU_DEP_4) | instskip(NEXT) | instid1(VALU_DEP_3)
	v_dual_fmac_f32 v15, v137, v114 :: v_dual_fmac_f32 v32, v75, v37
	v_fmac_f32_e32 v24, v75, v38
	v_fmac_f32_e32 v19, v155, v79
	s_delay_alu instid0(VALU_DEP_4) | instskip(SKIP_1) | instid1(VALU_DEP_4)
	v_dual_fmac_f32 v7, v155, v80 :: v_dual_fmac_f32 v28, v121, v97
	v_fmac_f32_e32 v20, v74, v43
	v_dual_fmac_f32 v27, v138, v109 :: v_dual_fmac_f32 v24, v76, v34
	s_delay_alu instid0(VALU_DEP_4) | instskip(NEXT) | instid1(VALU_DEP_4)
	v_dual_fmac_f32 v19, v156, v71 :: v_dual_fmac_f32 v16, v121, v98
	v_dual_fmac_f32 v7, v156, v72 :: v_dual_fmac_f32 v28, v122, v93
	;; [unrolled: 1-line block ×3, first 2 shown]
	v_fmac_f32_e32 v20, v75, v39
	v_dual_fmac_f32 v27, v139, v77 :: v_dual_fmac_f32 v8, v125, v100
	v_fmac_f32_e32 v23, v155, v78
	v_dual_fmac_f32 v19, v149, v63 :: v_dual_fmac_f32 v16, v122, v94
	v_dual_fmac_f32 v7, v149, v64 :: v_dual_fmac_f32 v28, v123, v89
	;; [unrolled: 1-line block ×4, first 2 shown]
	s_delay_alu instid0(VALU_DEP_4) | instskip(NEXT) | instid1(VALU_DEP_4)
	v_dual_fmac_f32 v19, v150, v59 :: v_dual_fmac_f32 v16, v123, v90
	v_dual_fmac_f32 v7, v150, v60 :: v_dual_fmac_f32 v28, v124, v81
	s_delay_alu instid0(VALU_DEP_3) | instskip(SKIP_3) | instid1(VALU_DEP_4)
	v_dual_fmac_f32 v27, v133, v61 :: v_dual_fmac_f32 v8, v127, v92
	v_fmac_f32_e32 v20, v76, v35
	v_dual_fmac_f32 v23, v156, v70 :: v_dual_fmac_f32 v4, v121, v100
	v_dual_fmac_f32 v15, v140, v70 :: v_dual_fmac_f32 v12, v122, v95
	v_dual_fmac_f32 v27, v134, v57 :: v_dual_fmac_f32 v8, v128, v84
	s_delay_alu instid0(VALU_DEP_3) | instskip(SKIP_3) | instid1(VALU_DEP_4)
	v_dual_fmac_f32 v23, v149, v62 :: v_dual_fmac_f32 v4, v122, v96
	v_dual_fmac_f32 v19, v151, v55 :: v_dual_fmac_f32 v16, v124, v82
	;; [unrolled: 1-line block ×28, first 2 shown]
	v_fmac_f32_e32 v11, v141, v99
	v_fmac_f32_e32 v3, v141, v100
	v_dual_fmac_f32 v15, v130, v42 :: v_dual_fmac_f32 v12, v108, v71
	v_dual_fmac_f32 v23, v147, v38 :: v_dual_fmac_f32 v4, v108, v72
	;; [unrolled: 1-line block ×3, first 2 shown]
	v_fmac_f32_e32 v16, v86, v58
	v_dual_fmac_f32 v11, v142, v95 :: v_dual_fmac_f32 v28, v87, v53
	v_fmac_f32_e32 v3, v142, v96
	v_dual_fmac_f32 v15, v131, v38 :: v_dual_fmac_f32 v12, v85, v63
	v_dual_fmac_f32 v23, v148, v34 :: v_dual_fmac_f32 v4, v85, v64
	v_fmac_f32_e32 v8, v103, v56
	v_fmac_f32_e32 v11, v143, v91
	;; [unrolled: 1-line block ×3, first 2 shown]
	v_dual_fmac_f32 v3, v143, v92 :: v_dual_fmac_f32 v28, v88, v49
	v_dual_fmac_f32 v15, v132, v34 :: v_dual_fmac_f32 v12, v86, v59
	s_delay_alu instid0(VALU_DEP_4) | instskip(NEXT) | instid1(VALU_DEP_3)
	v_dual_fmac_f32 v4, v86, v60 :: v_dual_fmac_f32 v11, v144, v83
	v_fmac_f32_e32 v3, v144, v84
	v_fmac_f32_e32 v8, v104, v52
	s_delay_alu instid0(VALU_DEP_4) | instskip(NEXT) | instid1(VALU_DEP_4)
	v_fmac_f32_e32 v12, v87, v55
	v_dual_fmac_f32 v4, v87, v56 :: v_dual_fmac_f32 v11, v137, v115
	s_delay_alu instid0(VALU_DEP_4) | instskip(NEXT) | instid1(VALU_DEP_3)
	v_dual_fmac_f32 v3, v137, v116 :: v_dual_fmac_f32 v16, v88, v50
	v_fmac_f32_e32 v12, v88, v51
	s_delay_alu instid0(VALU_DEP_3) | instskip(NEXT) | instid1(VALU_DEP_3)
	v_dual_fmac_f32 v4, v88, v52 :: v_dual_fmac_f32 v11, v138, v111
	v_fmac_f32_e32 v3, v138, v112
	v_fmac_f32_e32 v8, v73, v48
	;; [unrolled: 1-line block ×3, first 2 shown]
	s_delay_alu instid0(VALU_DEP_4) | instskip(NEXT) | instid1(VALU_DEP_4)
	v_dual_fmac_f32 v16, v65, v46 :: v_dual_fmac_f32 v11, v139, v79
	v_dual_fmac_f32 v3, v139, v80 :: v_dual_fmac_f32 v12, v65, v47
	s_delay_alu instid0(VALU_DEP_4) | instskip(NEXT) | instid1(VALU_DEP_3)
	v_fmac_f32_e32 v8, v74, v44
	v_dual_fmac_f32 v28, v66, v41 :: v_dual_fmac_f32 v11, v140, v71
	s_delay_alu instid0(VALU_DEP_3) | instskip(SKIP_2) | instid1(VALU_DEP_4)
	v_fmac_f32_e32 v3, v140, v72
	v_fmac_f32_e32 v4, v65, v48
	v_fmac_f32_e32 v16, v66, v42
	v_dual_fmac_f32 v28, v67, v37 :: v_dual_fmac_f32 v11, v133, v63
	s_delay_alu instid0(VALU_DEP_4) | instskip(NEXT) | instid1(VALU_DEP_4)
	v_dual_fmac_f32 v3, v133, v64 :: v_dual_fmac_f32 v12, v66, v43
	v_fmac_f32_e32 v4, v66, v44
	s_delay_alu instid0(VALU_DEP_3) | instskip(NEXT) | instid1(VALU_DEP_3)
	v_dual_fmac_f32 v16, v67, v38 :: v_dual_fmac_f32 v11, v134, v59
	v_fmac_f32_e32 v3, v134, v60
	v_fmac_f32_e32 v8, v75, v40
	v_fmac_f32_e32 v12, v67, v39
	v_fmac_f32_e32 v4, v67, v40
	v_fmac_f32_e32 v11, v135, v55
	v_dual_fmac_f32 v3, v135, v56 :: v_dual_fmac_f32 v28, v68, v33
	v_fmac_f32_e32 v8, v76, v36
	v_fmac_f32_e32 v16, v68, v34
	s_delay_alu instid0(VALU_DEP_4) | instskip(NEXT) | instid1(VALU_DEP_4)
	v_fmac_f32_e32 v11, v136, v51
	v_fmac_f32_e32 v3, v136, v52
	v_fmac_f32_e32 v12, v68, v35
	s_delay_alu instid0(VALU_DEP_3) | instskip(NEXT) | instid1(VALU_DEP_3)
	v_dual_fmac_f32 v4, v68, v36 :: v_dual_fmac_f32 v11, v129, v47
	v_fmac_f32_e32 v3, v129, v48
	s_delay_alu instid0(VALU_DEP_2) | instskip(NEXT) | instid1(VALU_DEP_2)
	v_fmac_f32_e32 v11, v130, v43
	v_fmac_f32_e32 v3, v130, v44
	s_delay_alu instid0(VALU_DEP_2) | instskip(NEXT) | instid1(VALU_DEP_2)
	v_fmac_f32_e32 v11, v131, v39
	;; [unrolled: 3-line block ×3, first 2 shown]
	v_fmac_f32_e32 v3, v132, v36
.LBB0_97:                               ; %._crit_edge._crit_edge
	.loc	1 0 35 is_stmt 0                ; matmul.py:0:35
	scratch_load_b32 v36, off, off th:TH_LOAD_LU ; 4-byte Folded Reload
	.loc	1 22 38 is_stmt 1               ; matmul.py:22:38
	s_or_b32 s1, s16, s25
	s_delay_alu instid0(SALU_CYCLE_1)
	.loc	1 40 33                         ; matmul.py:40:33
	s_cmp_lt_i32 s1, s4
	s_cselect_b32 s8, -1, 0
	.loc	1 41 21                         ; matmul.py:41:21
	s_lshl_b32 s9, s17, 11
	s_lshl_b32 s0, s0, 6
	s_wait_alu depctr_sa_sdst(0)
	s_and_b32 s9, s9, 0x800
	s_wait_alu depctr_sa_sdst(0)
	s_or_b32 s0, s0, s9
	s_delay_alu instid0(SALU_CYCLE_1) | instskip(SKIP_2) | instid1(VALU_DEP_1)
	s_add_co_i32 s0, s0, 0
	s_wait_loadcnt 0x0
	v_lshlrev_b32_e32 v0, 8, v36
	v_and_b32_e32 v0, 0x800, v0
	s_barrier_signal -1
	scratch_load_b32 v33, off, off offset:4 th:TH_LOAD_LU ; 4-byte Folded Reload
	s_barrier_wait -1
	s_wait_loadcnt 0x0
	global_inv scope:SCOPE_SE
	v_lshlrev_b32_e32 v33, 4, v33
	s_delay_alu instid0(VALU_DEP_1) | instskip(NEXT) | instid1(VALU_DEP_1)
	v_and_or_b32 v0, 0x770, v33, v0
	v_add_nc_u32_e32 v33, 0, v0
	v_xad_u32 v34, v0, 32, 0
	v_xad_u32 v35, v0, 64, 0
	;; [unrolled: 1-line block ×3, first 2 shown]
	ds_store_b128 v33, v[29:32]
	ds_store_b128 v33, v[25:28] offset:128
	ds_store_b128 v34, v[21:24] offset:4096
	;; [unrolled: 1-line block ×7, first 2 shown]
	s_wait_loadcnt_dscnt 0x0
	s_barrier_signal -1
	v_and_b32_e32 v0, 3, v36
	v_lshlrev_b32_e32 v1, 2, v36
	s_delay_alu instid0(VALU_DEP_2) | instskip(NEXT) | instid1(VALU_DEP_2)
	v_lshlrev_b32_e32 v2, 5, v0
	v_and_b32_e32 v1, 0x70, v1
	v_lshlrev_b32_e32 v0, 12, v0
	s_delay_alu instid0(VALU_DEP_2)
	v_xor_b32_e32 v1, v2, v1
	s_barrier_wait -1
	global_inv scope:SCOPE_SE
	scratch_load_b32 v34, off, off offset:8 th:TH_LOAD_LU ; 4-byte Folded Reload
	v_add3_u32 v0, s0, v0, v1
	ds_load_b128 v[28:31], v0
	ds_load_b128 v[24:27], v0 offset:256
	ds_load_b128 v[20:23], v0 offset:512
	;; [unrolled: 1-line block ×7, first 2 shown]
	.loc	1 39 64                         ; matmul.py:39:64
	s_wait_loadcnt 0x0
	s_wait_kmcnt 0x0
	v_mul_lo_u32 v32, v34, s7
	.loc	1 40 58                         ; matmul.py:40:58
	v_cmp_gt_i32_e32 vcc_lo, s5, v34
	.loc	1 40 39 is_stmt 0               ; matmul.py:40:39
	s_and_b32 s0, s8, vcc_lo
	s_delay_alu instid0(VALU_DEP_2) | instskip(NEXT) | instid1(VALU_DEP_1)
	.loc	1 39 52 is_stmt 1               ; matmul.py:39:52
	v_ashrrev_i32_e32 v33, 31, v32
	v_lshlrev_b64_e32 v[32:33], 2, v[32:33]
	.loc	1 41 21                         ; matmul.py:41:21
	s_wait_alu depctr_sa_sdst(0)
	s_and_saveexec_b32 s5, s0
	s_cbranch_execz .LBB0_99
; %bb.98:
	.loc	1 0 21 is_stmt 0                ; matmul.py:0:21
	s_mul_i32 s8, s1, s6
	s_wait_alu depctr_sa_sdst(0)
	s_ashr_i32 s9, s8, 31
	s_wait_alu depctr_sa_sdst(0)
	s_lshl_b64 s[8:9], s[8:9], 2
	s_wait_alu depctr_sa_sdst(0)
	s_add_nc_u64 s[8:9], s[2:3], s[8:9]
	s_wait_alu depctr_sa_sdst(0)
	v_add_co_u32 v34, s0, s8, v32
	s_wait_alu depctr_va_sdst(0)
	v_add_co_ci_u32_e64 v35, null, s9, v33, s0
	.loc	1 41 21                         ; matmul.py:41:21
	s_wait_dscnt 0x7
	global_store_b32 v[34:35], v28, off
.LBB0_99:
	.loc	1 0 21                          ; matmul.py:0:21
	s_wait_alu depctr_sa_sdst(0)
	s_or_b32 exec_lo, exec_lo, s5
	.loc	1 22 38 is_stmt 1               ; matmul.py:22:38
	s_or_b32 s0, s16, s18
	.loc	1 40 33                         ; matmul.py:40:33
	s_wait_alu depctr_sa_sdst(0)
	s_cmp_lt_i32 s0, s4
	s_cselect_b32 s5, -1, 0
	.loc	1 40 39 is_stmt 0               ; matmul.py:40:39
	s_wait_alu depctr_sa_sdst(0)
	s_and_b32 s7, s5, vcc_lo
	.loc	1 41 21 is_stmt 1               ; matmul.py:41:21
	s_wait_alu depctr_sa_sdst(0)
	s_and_saveexec_b32 s5, s7
	s_cbranch_execz .LBB0_101
; %bb.100:
	.loc	1 39 33                         ; matmul.py:39:33
	s_mul_i32 s8, s0, s6
	.loc	1 39 21 is_stmt 0               ; matmul.py:39:21
	s_wait_alu depctr_sa_sdst(0)
	s_ashr_i32 s9, s8, 31
	s_wait_alu depctr_sa_sdst(0)
	s_lshl_b64 s[8:9], s[8:9], 2
	s_wait_alu depctr_sa_sdst(0)
	s_add_nc_u64 s[8:9], s[2:3], s[8:9]
	.loc	1 39 52                         ; matmul.py:39:52
	s_wait_alu depctr_sa_sdst(0)
	v_add_co_u32 v34, s0, s8, v32
	s_wait_alu depctr_va_sdst(0)
	v_add_co_ci_u32_e64 v35, null, s9, v33, s0
	.loc	1 41 21 is_stmt 1               ; matmul.py:41:21
	s_wait_dscnt 0x7
	global_store_b32 v[34:35], v29, off
.LBB0_101:
	.loc	1 0 21 is_stmt 0                ; matmul.py:0:21
	s_wait_alu depctr_sa_sdst(0)
	s_or_b32 exec_lo, exec_lo, s5
	.loc	1 22 38 is_stmt 1               ; matmul.py:22:38
	s_or_b32 s0, s16, s19
	.loc	1 40 33                         ; matmul.py:40:33
	s_wait_alu depctr_sa_sdst(0)
	s_cmp_lt_i32 s0, s4
	s_cselect_b32 s5, -1, 0
	.loc	1 40 39 is_stmt 0               ; matmul.py:40:39
	s_wait_alu depctr_sa_sdst(0)
	s_and_b32 s7, s5, vcc_lo
	.loc	1 41 21 is_stmt 1               ; matmul.py:41:21
	s_wait_alu depctr_sa_sdst(0)
	s_and_saveexec_b32 s5, s7
	s_cbranch_execz .LBB0_103
; %bb.102:
	.loc	1 39 33                         ; matmul.py:39:33
	s_mul_i32 s8, s0, s6
	.loc	1 39 21 is_stmt 0               ; matmul.py:39:21
	s_wait_alu depctr_sa_sdst(0)
	s_ashr_i32 s9, s8, 31
	s_wait_alu depctr_sa_sdst(0)
	s_lshl_b64 s[8:9], s[8:9], 2
	s_wait_alu depctr_sa_sdst(0)
	s_add_nc_u64 s[8:9], s[2:3], s[8:9]
	.loc	1 39 52                         ; matmul.py:39:52
	s_wait_dscnt 0x7
	s_wait_alu depctr_sa_sdst(0)
	v_add_co_u32 v28, s0, s8, v32
	s_wait_alu depctr_va_sdst(0)
	v_add_co_ci_u32_e64 v29, null, s9, v33, s0
	.loc	1 41 21 is_stmt 1               ; matmul.py:41:21
	s_wait_dscnt 0x6
	global_store_b32 v[28:29], v24, off
.LBB0_103:
	.loc	1 0 21 is_stmt 0                ; matmul.py:0:21
	s_wait_alu depctr_sa_sdst(0)
	s_or_b32 exec_lo, exec_lo, s5
	.loc	1 22 38 is_stmt 1               ; matmul.py:22:38
	s_or_b32 s0, s16, s20
	.loc	1 40 33                         ; matmul.py:40:33
	s_wait_alu depctr_sa_sdst(0)
	s_cmp_lt_i32 s0, s4
	s_cselect_b32 s5, -1, 0
	.loc	1 40 39 is_stmt 0               ; matmul.py:40:39
	s_wait_alu depctr_sa_sdst(0)
	s_and_b32 s7, s5, vcc_lo
	.loc	1 41 21 is_stmt 1               ; matmul.py:41:21
	s_wait_alu depctr_sa_sdst(0)
	s_and_saveexec_b32 s5, s7
	s_cbranch_execz .LBB0_105
; %bb.104:
	.loc	1 39 33                         ; matmul.py:39:33
	s_mul_i32 s8, s0, s6
	.loc	1 39 21 is_stmt 0               ; matmul.py:39:21
	s_wait_alu depctr_sa_sdst(0)
	s_ashr_i32 s9, s8, 31
	s_wait_alu depctr_sa_sdst(0)
	s_lshl_b64 s[8:9], s[8:9], 2
	s_wait_alu depctr_sa_sdst(0)
	s_add_nc_u64 s[8:9], s[2:3], s[8:9]
	.loc	1 39 52                         ; matmul.py:39:52
	s_wait_dscnt 0x7
	s_wait_alu depctr_sa_sdst(0)
	v_add_co_u32 v28, s0, s8, v32
	s_wait_alu depctr_va_sdst(0)
	v_add_co_ci_u32_e64 v29, null, s9, v33, s0
	.loc	1 41 21 is_stmt 1               ; matmul.py:41:21
	s_wait_dscnt 0x6
	global_store_b32 v[28:29], v25, off
.LBB0_105:
	;; [unrolled: 36-line block ×14, first 2 shown]
	.loc	1 0 21 is_stmt 0                ; matmul.py:0:21
	s_wait_alu depctr_sa_sdst(0)
	s_or_b32 exec_lo, exec_lo, s5
	.loc	1 22 38 is_stmt 1               ; matmul.py:22:38
	s_or_b32 s0, s1, 32
	.loc	1 40 33                         ; matmul.py:40:33
	s_wait_alu depctr_sa_sdst(0)
	s_cmp_lt_i32 s0, s4
	s_cselect_b32 s5, -1, 0
	.loc	1 40 39 is_stmt 0               ; matmul.py:40:39
	s_wait_alu depctr_sa_sdst(0)
	s_and_b32 s7, s5, vcc_lo
	.loc	1 41 21 is_stmt 1               ; matmul.py:41:21
	s_wait_alu depctr_sa_sdst(0)
	s_and_saveexec_b32 s5, s7
	s_cbranch_execz .LBB0_131
; %bb.130:
	.loc	1 39 33                         ; matmul.py:39:33
	s_mul_i32 s8, s6, s0
	.loc	1 39 21 is_stmt 0               ; matmul.py:39:21
	s_wait_alu depctr_sa_sdst(0)
	s_ashr_i32 s9, s8, 31
	s_wait_alu depctr_sa_sdst(0)
	s_lshl_b64 s[8:9], s[8:9], 2
	s_wait_alu depctr_sa_sdst(0)
	s_add_nc_u64 s[8:9], s[2:3], s[8:9]
	.loc	1 39 52                         ; matmul.py:39:52
	s_wait_dscnt 0x0
	s_wait_alu depctr_sa_sdst(0)
	v_add_co_u32 v0, s0, s8, v32
	s_wait_alu depctr_va_sdst(0)
	v_add_co_ci_u32_e64 v1, null, s9, v33, s0
	.loc	1 41 21 is_stmt 1               ; matmul.py:41:21
	global_store_b32 v[0:1], v30, off
.LBB0_131:
	.loc	1 0 21 is_stmt 0                ; matmul.py:0:21
	s_wait_alu depctr_sa_sdst(0)
	s_or_b32 exec_lo, exec_lo, s5
	.loc	1 22 38 is_stmt 1               ; matmul.py:22:38
	s_or_b32 s0, s1, 34
	.loc	1 40 33                         ; matmul.py:40:33
	s_wait_alu depctr_sa_sdst(0)
	s_cmp_lt_i32 s0, s4
	s_cselect_b32 s5, -1, 0
	.loc	1 40 39 is_stmt 0               ; matmul.py:40:39
	s_wait_alu depctr_sa_sdst(0)
	s_and_b32 s7, s5, vcc_lo
	.loc	1 41 21 is_stmt 1               ; matmul.py:41:21
	s_wait_alu depctr_sa_sdst(0)
	s_and_saveexec_b32 s5, s7
	s_cbranch_execz .LBB0_133
; %bb.132:
	.loc	1 39 33                         ; matmul.py:39:33
	s_mul_i32 s8, s6, s0
	.loc	1 39 21 is_stmt 0               ; matmul.py:39:21
	s_wait_alu depctr_sa_sdst(0)
	s_ashr_i32 s9, s8, 31
	s_wait_alu depctr_sa_sdst(0)
	s_lshl_b64 s[8:9], s[8:9], 2
	s_wait_alu depctr_sa_sdst(0)
	s_add_nc_u64 s[8:9], s[2:3], s[8:9]
	.loc	1 39 52                         ; matmul.py:39:52
	s_wait_dscnt 0x0
	s_wait_alu depctr_sa_sdst(0)
	v_add_co_u32 v0, s0, s8, v32
	s_wait_alu depctr_va_sdst(0)
	v_add_co_ci_u32_e64 v1, null, s9, v33, s0
	.loc	1 41 21 is_stmt 1               ; matmul.py:41:21
	global_store_b32 v[0:1], v31, off
.LBB0_133:
	;; [unrolled: 35-line block ×15, first 2 shown]
	.loc	1 0 21 is_stmt 0                ; matmul.py:0:21
	s_wait_alu depctr_sa_sdst(0)
	s_or_b32 exec_lo, exec_lo, s5
	.loc	1 22 38 is_stmt 1               ; matmul.py:22:38
	s_or_b32 s0, s1, 62
	.loc	1 40 33                         ; matmul.py:40:33
	s_wait_alu depctr_sa_sdst(0)
	s_cmp_lt_i32 s0, s4
	s_cselect_b32 s1, -1, 0
	.loc	1 40 39 is_stmt 0               ; matmul.py:40:39
	s_wait_alu depctr_sa_sdst(0)
	s_and_b32 s1, s1, vcc_lo
	.loc	1 41 21 is_stmt 1               ; matmul.py:41:21
	s_wait_alu depctr_sa_sdst(0)
	s_and_saveexec_b32 s4, s1
	s_cbranch_execz .LBB0_161
; %bb.160:
	.loc	1 39 33                         ; matmul.py:39:33
	s_mul_i32 s0, s6, s0
	.loc	1 39 21 is_stmt 0               ; matmul.py:39:21
	s_wait_alu depctr_sa_sdst(0)
	s_ashr_i32 s1, s0, 31
	s_wait_alu depctr_sa_sdst(0)
	s_lshl_b64 s[0:1], s[0:1], 2
	s_wait_alu depctr_sa_sdst(0)
	s_add_nc_u64 s[0:1], s[2:3], s[0:1]
	.loc	1 39 52                         ; matmul.py:39:52
	s_wait_dscnt 0x0
	s_wait_alu depctr_sa_sdst(0)
	v_add_co_u32 v0, vcc_lo, s0, v32
	s_wait_alu depctr_va_vcc(0)
	v_add_co_ci_u32_e64 v1, null, s1, v33, vcc_lo
	.loc	1 41 21 is_stmt 1               ; matmul.py:41:21
	global_store_b32 v[0:1], v3, off
.LBB0_161:
	.loc	1 41 4 is_stmt 0                ; matmul.py:41:4
	s_nop 0
	s_sendmsg sendmsg(MSG_DEALLOC_VGPRS)
	s_endpgm
.LBB0_162:
	.loc	1 34 18 is_stmt 1               ; matmul.py:34:18
	s_wait_alu depctr_sa_sdst(0)
	s_lshl_b64 s[12:13], s[2:3], 2
	s_wait_alu depctr_sa_sdst(0)
	v_add_co_u32 v0, vcc_lo, v161, s12
	s_wait_alu depctr_va_vcc(0)
	v_add_co_ci_u32_e64 v1, null, s13, v162, vcc_lo
	.loc	1 31 20                         ; matmul.py:31:20
	global_load_b32 v0, v[0:1], off
	.loc	1 31 51 is_stmt 0               ; matmul.py:31:51
	s_cmp_ge_u32 s18, s7
	s_wait_loadcnt 0x0
	scratch_store_b32 off, v0, off offset:52 ; 4-byte Folded Spill
	.loc	1 31 20                         ; matmul.py:31:20
	s_cbranch_scc1 .LBB0_51
.LBB0_163:
	.loc	1 34 18 is_stmt 1               ; matmul.py:34:18
	s_wait_alu depctr_sa_sdst(0)
	s_lshl_b64 s[12:13], s[2:3], 2
	s_wait_alu depctr_sa_sdst(0)
	v_add_co_u32 v0, vcc_lo, v163, s12
	s_wait_alu depctr_va_vcc(0)
	v_add_co_ci_u32_e64 v1, null, s13, v164, vcc_lo
	.loc	1 31 20                         ; matmul.py:31:20
	global_load_b32 v6, v[0:1], off
	v_dual_mov_b32 v7, 0 :: v_dual_mov_b32 v0, 0
	.loc	1 31 51 is_stmt 0               ; matmul.py:31:51
	s_cmp_ge_u32 s19, s7
	.loc	1 31 20                         ; matmul.py:31:20
	s_cbranch_scc1 .LBB0_52
.LBB0_164:
	.loc	1 34 18 is_stmt 1               ; matmul.py:34:18
	s_wait_alu depctr_sa_sdst(0)
	s_lshl_b64 s[12:13], s[2:3], 2
	s_wait_alu depctr_sa_sdst(0)
	v_add_co_u32 v0, vcc_lo, v165, s12
	s_wait_alu depctr_va_vcc(0)
	v_add_co_ci_u32_e64 v1, null, s13, v166, vcc_lo
	.loc	1 31 20                         ; matmul.py:31:20
	global_load_b32 v0, v[0:1], off
	.loc	1 31 51 is_stmt 0               ; matmul.py:31:51
	s_cmp_ge_u32 s20, s7
	s_wait_loadcnt 0x0
	scratch_store_b32 off, v0, off offset:60 ; 4-byte Folded Spill
	.loc	1 31 20                         ; matmul.py:31:20
	s_cbranch_scc1 .LBB0_53
.LBB0_165:
	.loc	1 34 18 is_stmt 1               ; matmul.py:34:18
	s_wait_alu depctr_sa_sdst(0)
	s_lshl_b64 s[12:13], s[2:3], 2
	s_wait_alu depctr_sa_sdst(0)
	v_add_co_u32 v0, vcc_lo, v167, s12
	s_wait_alu depctr_va_vcc(0)
	v_add_co_ci_u32_e64 v1, null, s13, v168, vcc_lo
	.loc	1 31 20                         ; matmul.py:31:20
	global_load_b32 v7, v[0:1], off
	v_mov_b32_e32 v8, 0
	v_mov_b32_e32 v0, 0
	.loc	1 31 51 is_stmt 0               ; matmul.py:31:51
	s_cmp_ge_u32 s21, s7
	.loc	1 31 20                         ; matmul.py:31:20
	s_cbranch_scc1 .LBB0_54
.LBB0_166:
	.loc	1 34 18 is_stmt 1               ; matmul.py:34:18
	s_wait_alu depctr_sa_sdst(0)
	s_lshl_b64 s[12:13], s[2:3], 2
	s_wait_alu depctr_sa_sdst(0)
	v_add_co_u32 v0, vcc_lo, v169, s12
	s_wait_alu depctr_va_vcc(0)
	v_add_co_ci_u32_e64 v1, null, s13, v170, vcc_lo
	.loc	1 31 20                         ; matmul.py:31:20
	global_load_b32 v0, v[0:1], off
	.loc	1 31 51 is_stmt 0               ; matmul.py:31:51
	s_cmp_ge_u32 s22, s7
	s_wait_loadcnt 0x0
	scratch_store_b32 off, v0, off offset:68 ; 4-byte Folded Spill
	.loc	1 31 20                         ; matmul.py:31:20
	s_cbranch_scc1 .LBB0_55
.LBB0_167:
	.loc	1 34 18 is_stmt 1               ; matmul.py:34:18
	s_wait_alu depctr_sa_sdst(0)
	s_lshl_b64 s[12:13], s[2:3], 2
	s_wait_alu depctr_sa_sdst(0)
	v_add_co_u32 v0, vcc_lo, v171, s12
	s_wait_alu depctr_va_vcc(0)
	v_add_co_ci_u32_e64 v1, null, s13, v172, vcc_lo
	.loc	1 31 20                         ; matmul.py:31:20
	global_load_b32 v8, v[0:1], off
	v_dual_mov_b32 v9, 0 :: v_dual_mov_b32 v0, 0
	.loc	1 31 51 is_stmt 0               ; matmul.py:31:51
	s_cmp_ge_u32 s23, s7
	.loc	1 31 20                         ; matmul.py:31:20
	s_cbranch_scc0 .LBB0_56
	s_branch .LBB0_57
.Ltmp18:
	.section	.rodata,"a",@progbits
	.p2align	6, 0x0
	.amdhsa_kernel matmul_kernel
		.amdhsa_group_segment_fixed_size 0
		.amdhsa_private_segment_fixed_size 96
		.amdhsa_kernarg_size 80
		.amdhsa_user_sgpr_count 2
		.amdhsa_user_sgpr_dispatch_ptr 0
		.amdhsa_user_sgpr_queue_ptr 0
		.amdhsa_user_sgpr_kernarg_segment_ptr 1
		.amdhsa_user_sgpr_dispatch_id 0
		.amdhsa_user_sgpr_private_segment_size 0
		.amdhsa_wavefront_size32 1
		.amdhsa_uses_dynamic_stack 0
		.amdhsa_enable_private_segment 1
		.amdhsa_system_sgpr_workgroup_id_x 1
		.amdhsa_system_sgpr_workgroup_id_y 1
		.amdhsa_system_sgpr_workgroup_id_z 1
		.amdhsa_system_sgpr_workgroup_info 0
		.amdhsa_system_vgpr_workitem_id 0
		.amdhsa_next_free_vgpr 256
		.amdhsa_next_free_sgpr 30
		.amdhsa_reserve_vcc 1
		.amdhsa_float_round_mode_32 0
		.amdhsa_float_round_mode_16_64 0
		.amdhsa_float_denorm_mode_32 3
		.amdhsa_float_denorm_mode_16_64 3
		.amdhsa_fp16_overflow 0
		.amdhsa_workgroup_processor_mode 1
		.amdhsa_memory_ordered 1
		.amdhsa_forward_progress 1
		.amdhsa_inst_pref_size 142
		.amdhsa_round_robin_scheduling 0
		.amdhsa_exception_fp_ieee_invalid_op 0
		.amdhsa_exception_fp_denorm_src 0
		.amdhsa_exception_fp_ieee_div_zero 0
		.amdhsa_exception_fp_ieee_overflow 0
		.amdhsa_exception_fp_ieee_underflow 0
		.amdhsa_exception_fp_ieee_inexact 0
		.amdhsa_exception_int_div_zero 0
	.end_amdhsa_kernel
	.text
.Lfunc_end0:
	.size	matmul_kernel, .Lfunc_end0-matmul_kernel
	.cfi_endproc
                                        ; -- End function
	.set matmul_kernel.num_vgpr, 256
	.set matmul_kernel.num_agpr, 0
	.set matmul_kernel.numbered_sgpr, 30
	.set matmul_kernel.num_named_barrier, 0
	.set matmul_kernel.private_seg_size, 96
	.set matmul_kernel.uses_vcc, 1
	.set matmul_kernel.uses_flat_scratch, 1
	.set matmul_kernel.has_dyn_sized_stack, 0
	.set matmul_kernel.has_recursion, 0
	.set matmul_kernel.has_indirect_call, 0
	.section	.AMDGPU.csdata,"",@progbits
; Kernel info:
; codeLenInByte = 18088
; TotalNumSgprs: 32
; NumVgprs: 256
; ScratchSize: 96
; MemoryBound: 0
; FloatMode: 240
; IeeeMode: 1
; LDSByteSize: 0 bytes/workgroup (compile time only)
; SGPRBlocks: 0
; VGPRBlocks: 31
; NumSGPRsForWavesPerEU: 32
; NumVGPRsForWavesPerEU: 256
; Occupancy: 5
; WaveLimiterHint : 0
; COMPUTE_PGM_RSRC2:SCRATCH_EN: 1
; COMPUTE_PGM_RSRC2:USER_SGPR: 2
; COMPUTE_PGM_RSRC2:TRAP_HANDLER: 0
; COMPUTE_PGM_RSRC2:TGID_X_EN: 1
; COMPUTE_PGM_RSRC2:TGID_Y_EN: 1
; COMPUTE_PGM_RSRC2:TGID_Z_EN: 1
; COMPUTE_PGM_RSRC2:TIDIG_COMP_CNT: 0
	.text
	.p2alignl 7, 3214868480
	.fill 96, 4, 3214868480
	.section	.AMDGPU.gpr_maximums,"",@progbits
	.set amdgpu.max_num_vgpr, 0
	.set amdgpu.max_num_agpr, 0
	.set amdgpu.max_num_sgpr, 0
	.set amdgpu.max_num_named_barrier, 0
	.text
	.section	.debug_abbrev,"",@progbits
	.byte	1                               ; Abbreviation Code
	.byte	17                              ; DW_TAG_compile_unit
	.byte	1                               ; DW_CHILDREN_yes
	.byte	37                              ; DW_AT_producer
	.byte	14                              ; DW_FORM_strp
	.byte	19                              ; DW_AT_language
	.byte	5                               ; DW_FORM_data2
	.byte	3                               ; DW_AT_name
	.byte	14                              ; DW_FORM_strp
	.byte	16                              ; DW_AT_stmt_list
	.byte	23                              ; DW_FORM_sec_offset
	.byte	27                              ; DW_AT_comp_dir
	.byte	14                              ; DW_FORM_strp
	.byte	17                              ; DW_AT_low_pc
	.byte	1                               ; DW_FORM_addr
	.byte	18                              ; DW_AT_high_pc
	.byte	6                               ; DW_FORM_data4
	.byte	0                               ; EOM(1)
	.byte	0                               ; EOM(2)
	.byte	2                               ; Abbreviation Code
	.byte	46                              ; DW_TAG_subprogram
	.byte	0                               ; DW_CHILDREN_no
	.byte	3                               ; DW_AT_name
	.byte	14                              ; DW_FORM_strp
	.byte	32                              ; DW_AT_inline
	.byte	11                              ; DW_FORM_data1
	.byte	0                               ; EOM(1)
	.byte	0                               ; EOM(2)
	.byte	3                               ; Abbreviation Code
	.byte	46                              ; DW_TAG_subprogram
	.byte	1                               ; DW_CHILDREN_yes
	.byte	17                              ; DW_AT_low_pc
	.byte	1                               ; DW_FORM_addr
	.byte	18                              ; DW_AT_high_pc
	.byte	6                               ; DW_FORM_data4
	.byte	49                              ; DW_AT_abstract_origin
	.byte	19                              ; DW_FORM_ref4
	.byte	0                               ; EOM(1)
	.byte	0                               ; EOM(2)
	.byte	4                               ; Abbreviation Code
	.byte	29                              ; DW_TAG_inlined_subroutine
	.byte	0                               ; DW_CHILDREN_no
	.byte	49                              ; DW_AT_abstract_origin
	.byte	19                              ; DW_FORM_ref4
	.byte	85                              ; DW_AT_ranges
	.byte	23                              ; DW_FORM_sec_offset
	.byte	88                              ; DW_AT_call_file
	.byte	11                              ; DW_FORM_data1
	.byte	89                              ; DW_AT_call_line
	.byte	11                              ; DW_FORM_data1
	.byte	87                              ; DW_AT_call_column
	.byte	11                              ; DW_FORM_data1
	.byte	0                               ; EOM(1)
	.byte	0                               ; EOM(2)
	;; [unrolled: 1-line block ×3, first 2 shown]
	.section	.debug_info,"",@progbits
.Lcu_begin0:
	.long	.Ldebug_info_end0-.Ldebug_info_start0 ; Length of Unit
.Ldebug_info_start0:
	.short	4                               ; DWARF version number
	.long	.debug_abbrev                   ; Offset Into Abbrev. Section
	.byte	8                               ; Address Size (in bytes)
	.byte	1                               ; Abbrev [1] 0xb:0x5c DW_TAG_compile_unit
	.long	.Linfo_string0                  ; DW_AT_producer
	.short	2                               ; DW_AT_language
	.long	.Linfo_string1                  ; DW_AT_name
	.long	.Lline_table_start0             ; DW_AT_stmt_list
	.long	.Linfo_string2                  ; DW_AT_comp_dir
	.quad	.Lfunc_begin0                   ; DW_AT_low_pc
	.long	.Lfunc_end0-.Lfunc_begin0       ; DW_AT_high_pc
	.byte	2                               ; Abbrev [2] 0x2a:0x6 DW_TAG_subprogram
	.long	.Linfo_string3                  ; DW_AT_name
	.byte	1                               ; DW_AT_inline
	.byte	3                               ; Abbrev [3] 0x30:0x36 DW_TAG_subprogram
	.quad	.Lfunc_begin0                   ; DW_AT_low_pc
	.long	.Lfunc_end0-.Lfunc_begin0       ; DW_AT_high_pc
	.long	42                              ; DW_AT_abstract_origin
	.byte	4                               ; Abbrev [4] 0x41:0xc DW_TAG_inlined_subroutine
	.long	42                              ; DW_AT_abstract_origin
	.long	.Ldebug_ranges0                 ; DW_AT_ranges
	.byte	1                               ; DW_AT_call_file
	.byte	14                              ; DW_AT_call_line
	.byte	27                              ; DW_AT_call_column
	.byte	4                               ; Abbrev [4] 0x4d:0xc DW_TAG_inlined_subroutine
	.long	42                              ; DW_AT_abstract_origin
	.long	.Ldebug_ranges1                 ; DW_AT_ranges
	.byte	1                               ; DW_AT_call_file
	.byte	13                              ; DW_AT_call_line
	.byte	27                              ; DW_AT_call_column
	;; [unrolled: 6-line block ×3, first 2 shown]
	.byte	0                               ; End Of Children Mark
	.byte	0                               ; End Of Children Mark
.Ldebug_info_end0:
	.section	.debug_ranges,"",@progbits
.Ldebug_ranges0:
	.quad	.Ltmp1-.Lfunc_begin0
	.quad	.Ltmp2-.Lfunc_begin0
	;; [unrolled: 1-line block ×10, first 2 shown]
	.quad	0
	.quad	0
.Ldebug_ranges1:
	.quad	.Ltmp2-.Lfunc_begin0
	.quad	.Ltmp3-.Lfunc_begin0
	;; [unrolled: 1-line block ×10, first 2 shown]
	.quad	0
	.quad	0
.Ldebug_ranges2:
	.quad	.Ltmp12-.Lfunc_begin0
	.quad	.Ltmp13-.Lfunc_begin0
	;; [unrolled: 1-line block ×6, first 2 shown]
	.quad	0
	.quad	0
	.section	.debug_str,"MS",@progbits,1
.Linfo_string0:
	.asciz	"triton"                        ; string offset=0
.Linfo_string1:
	.asciz	"matmul.py"                     ; string offset=7
.Linfo_string2:
	.asciz	"/root/src/amdgpu-assembly/repos/triton-lang__triton-aot" ; string offset=17
.Linfo_string3:
	.asciz	"matmul_kernel"                 ; string offset=73
	.section	".note.GNU-stack","",@progbits
	.amdgpu_metadata
---
amdhsa.kernels:
  - .args:
      - .address_space:  global
        .offset:         0
        .size:           8
        .value_kind:     global_buffer
      - .address_space:  global
        .offset:         8
        .size:           8
        .value_kind:     global_buffer
      - .address_space:  global
        .offset:         16
        .size:           8
        .value_kind:     global_buffer
      - .offset:         24
        .size:           4
        .value_kind:     by_value
      - .offset:         28
        .size:           4
        .value_kind:     by_value
      - .offset:         32
        .size:           4
        .value_kind:     by_value
      - .offset:         36
        .size:           4
        .value_kind:     by_value
      - .offset:         40
        .size:           4
        .value_kind:     by_value
      - .offset:         44
        .size:           4
        .value_kind:     by_value
      - .offset:         48
        .size:           4
        .value_kind:     by_value
      - .offset:         52
        .size:           4
        .value_kind:     by_value
      - .offset:         56
        .size:           4
        .value_kind:     by_value
      - .address_space:  global
        .offset:         64
        .size:           8
        .value_kind:     global_buffer
      - .address_space:  global
        .offset:         72
        .size:           8
        .value_kind:     global_buffer
    .group_segment_fixed_size: 0
    .kernarg_segment_align: 8
    .kernarg_segment_size: 80
    .max_flat_workgroup_size: 128
    .name:           matmul_kernel
    .private_segment_fixed_size: 96
    .sgpr_count:     32
    .sgpr_spill_count: 0
    .symbol:         matmul_kernel.kd
    .uniform_work_group_size: 1
    .uses_dynamic_stack: false
    .vgpr_count:     256
    .vgpr_spill_count: 23
    .wavefront_size: 32
    .workgroup_processor_mode: 1
amdhsa.target:   amdgcn-amd-amdhsa--gfx1201
amdhsa.version:
  - 1
  - 2
...

	.end_amdgpu_metadata
	.section	.debug_line,"",@progbits
.Lline_table_start0:
